;; amdgpu-corpus repo=zjin-lcf/HeCBench kind=compiled arch=gfx1100 opt=O3
	.text
	.amdgcn_target "amdgcn-amd-amdhsa--gfx1100"
	.amdhsa_code_object_version 6
	.section	.text._Z7dfs_gpuILi7EEvPl,"axG",@progbits,_Z7dfs_gpuILi7EEvPl,comdat
	.protected	_Z7dfs_gpuILi7EEvPl     ; -- Begin function _Z7dfs_gpuILi7EEvPl
	.globl	_Z7dfs_gpuILi7EEvPl
	.p2align	8
	.type	_Z7dfs_gpuILi7EEvPl,@function
_Z7dfs_gpuILi7EEvPl:                    ; @_Z7dfs_gpuILi7EEvPl
; %bb.0:
	s_load_b64 s[2:3], s[0:1], 0x0
	v_dual_mov_b32 v5, 0x7f :: v_dual_mov_b32 v2, 0
	v_lshl_add_u32 v7, s15, 2, v0
	s_movk_i32 s0, 0x3c0
	v_mov_b32_e32 v6, 0xff00
	s_delay_alu instid0(VALU_DEP_3)
	v_dual_mov_b32 v18, 4 :: v_dual_mov_b32 v3, v2
	v_mov_b32_e32 v12, 1
	v_mul_u32_u24_e32 v13, 0xf0, v0
	v_mov_b32_e32 v1, v2
	v_mov_b32_e32 v4, v2
	v_mul_u32_u24_e32 v9, 60, v0
	v_lshl_add_u32 v14, v0, 3, 0x750
	v_mad_u32_u24 v15, 0xa8, v0, s0
	v_ashrrev_i32_e32 v8, 31, v7
	v_mul_u32_u24_e32 v10, 0xa8, v0
	s_mov_b32 s4, 0
	s_mov_b32 s7, 0x103c3ce1
	ds_store_b128 v13, v[1:4]
	s_waitcnt lgkmcnt(0)
	s_add_u32 s5, s2, 8
	s_addc_u32 s6, s3, 0
	ds_store_b32 v9, v5 offset:1632
	ds_store_b32 v10, v6 offset:960
	s_branch .LBB0_3
.LBB0_1:                                ;   in Loop: Header=BB0_3 Depth=1
	s_or_b32 exec_lo, exec_lo, s0
.LBB0_2:                                ;   in Loop: Header=BB0_3 Depth=1
	s_delay_alu instid0(SALU_CYCLE_1) | instskip(SKIP_3) | instid1(SALU_CYCLE_1)
	s_or_b32 exec_lo, exec_lo, s8
	v_cmp_eq_u32_e32 vcc_lo, 0, v16
	v_mov_b32_e32 v18, v16
	s_or_b32 s4, vcc_lo, s4
	s_and_not1_b32 exec_lo, exec_lo, s4
	s_cbranch_execz .LBB0_42
.LBB0_3:                                ; =>This Inner Loop Header: Depth=1
	s_delay_alu instid0(VALU_DEP_1) | instskip(SKIP_2) | instid1(VALU_DEP_2)
	v_add_nc_u32_e32 v16, -4, v18
	v_add_nc_u32_e32 v1, v18, v15
	s_mov_b32 s1, exec_lo
	v_add_nc_u32_e32 v19, v15, v16
	s_delay_alu instid0(VALU_DEP_2)
	v_add_nc_u32_e32 v20, -2, v1
	v_add_nc_u32_e32 v21, -3, v1
	;; [unrolled: 1-line block ×3, first 2 shown]
	ds_load_u8 v23, v19
	ds_load_u8 v25, v20
	ds_load_i8 v11, v21
	s_waitcnt lgkmcnt(2)
	v_bfe_i32 v24, v23, 0, 8
	s_waitcnt lgkmcnt(0)
	v_cmp_gt_i16_e32 vcc_lo, 0, v11
	s_delay_alu instid0(VALU_DEP_2) | instskip(SKIP_1) | instid1(VALU_DEP_2)
	v_lshlrev_b32_e32 v3, 4, v24
	v_lshlrev_b32_e32 v4, 2, v24
	v_add_nc_u32_e32 v10, v13, v3
	s_delay_alu instid0(VALU_DEP_2)
	v_mad_u32_u24 v1, v0, 60, v4
	ds_load_u8 v17, v22
	ds_load_b128 v[3:6], v10
	ds_load_b32 v9, v1 offset:1632
	s_waitcnt lgkmcnt(1)
	ds_store_b128 v10, v[3:6] offset:16
	v_cmpx_ne_u16_e32 0, v25
	s_xor_b32 s1, exec_lo, s1
	s_cbranch_execz .LBB0_9
; %bb.4:                                ;   in Loop: Header=BB0_3 Depth=1
	s_and_saveexec_b32 s0, vcc_lo
	s_delay_alu instid0(SALU_CYCLE_1)
	s_xor_b32 s0, exec_lo, s0
	s_cbranch_execz .LBB0_6
; %bb.5:                                ;   in Loop: Header=BB0_3 Depth=1
	v_lshrrev_b64 v[24:25], v24, 0x2000
	v_add_nc_u16 v17, v17, 1
                                        ; implicit-def: $vgpr11
	s_delay_alu instid0(VALU_DEP_2) | instskip(NEXT) | instid1(VALU_DEP_3)
	v_or_b32_e32 v6, v6, v25
	v_or_b32_e32 v5, v5, v24
	ds_store_b64 v10, v[5:6] offset:24
                                        ; implicit-def: $vgpr10
.LBB0_6:                                ;   in Loop: Header=BB0_3 Depth=1
	s_and_not1_saveexec_b32 s8, s0
	s_cbranch_execz .LBB0_8
; %bb.7:                                ;   in Loop: Header=BB0_3 Depth=1
	v_bfe_i32 v11, v11, 0, 16
	v_add_co_u32 v24, s0, v5, -1
	s_delay_alu instid0(VALU_DEP_1) | instskip(NEXT) | instid1(VALU_DEP_3)
	v_add_co_ci_u32_e64 v25, s0, -1, v6, s0
	v_lshlrev_b32_e64 v26, v11, 1
	v_add_nc_u32_e32 v11, v14, v11
	s_delay_alu instid0(VALU_DEP_4) | instskip(NEXT) | instid1(VALU_DEP_4)
	v_and_b32_e32 v5, v24, v5
	v_and_b32_e32 v6, v25, v6
	ds_store_b8 v11, v23
	ds_store_b64 v10, v[5:6] offset:24
	s_waitcnt lgkmcnt(3)
	v_xor_b32_e32 v9, v9, v26
.LBB0_8:                                ;   in Loop: Header=BB0_3 Depth=1
	s_or_b32 exec_lo, exec_lo, s8
                                        ; implicit-def: $vgpr11
                                        ; implicit-def: $vgpr10
                                        ; implicit-def: $vgpr24
.LBB0_9:                                ;   in Loop: Header=BB0_3 Depth=1
	s_and_not1_saveexec_b32 s0, s1
	s_cbranch_execz .LBB0_15
; %bb.10:                               ;   in Loop: Header=BB0_3 Depth=1
	s_and_saveexec_b32 s1, vcc_lo
	s_delay_alu instid0(SALU_CYCLE_1)
	s_xor_b32 s1, exec_lo, s1
	s_cbranch_execz .LBB0_12
; %bb.11:                               ;   in Loop: Header=BB0_3 Depth=1
	v_lshrrev_b64 v[24:25], v24, 0x2000
	v_add_nc_u16 v17, v17, 1
                                        ; implicit-def: $vgpr11
	s_delay_alu instid0(VALU_DEP_2) | instskip(NEXT) | instid1(VALU_DEP_3)
	v_or_b32_e32 v4, v25, v4
	v_or_b32_e32 v3, v24, v3
	ds_store_b64 v10, v[3:4] offset:16
                                        ; implicit-def: $vgpr10
.LBB0_12:                               ;   in Loop: Header=BB0_3 Depth=1
	s_and_not1_saveexec_b32 s1, s1
	s_cbranch_execz .LBB0_14
; %bb.13:                               ;   in Loop: Header=BB0_3 Depth=1
	v_bfe_i32 v11, v11, 0, 16
	v_add_co_u32 v24, vcc_lo, v3, -1
	v_add_co_ci_u32_e32 v25, vcc_lo, -1, v4, vcc_lo
	s_delay_alu instid0(VALU_DEP_3) | instskip(SKIP_1) | instid1(VALU_DEP_4)
	v_lshlrev_b32_e64 v26, v11, 1
	v_add_nc_u32_e32 v11, v14, v11
	v_and_b32_e32 v3, v24, v3
	s_delay_alu instid0(VALU_DEP_4)
	v_and_b32_e32 v4, v25, v4
	ds_store_b8 v11, v23
	ds_store_b64 v10, v[3:4] offset:16
	s_waitcnt lgkmcnt(3)
	v_xor_b32_e32 v9, v9, v26
.LBB0_14:                               ;   in Loop: Header=BB0_3 Depth=1
	s_or_b32 exec_lo, exec_lo, s1
.LBB0_15:                               ;   in Loop: Header=BB0_3 Depth=1
	s_delay_alu instid0(SALU_CYCLE_1)
	s_or_b32 exec_lo, exec_lo, s0
	v_add_nc_u32_e32 v1, 0x660, v1
	s_mov_b32 s1, 0
	s_mov_b32 s0, exec_lo
	s_waitcnt lgkmcnt(1)
	ds_store_b32 v1, v9 offset:4
	v_and_b32_e32 v1, 0xff, v23
	s_delay_alu instid0(VALU_DEP_1)
	v_cmpx_lt_i16_e32 12, v1
	s_xor_b32 s0, exec_lo, s0
	s_cbranch_execnz .LBB0_18
; %bb.16:                               ;   in Loop: Header=BB0_3 Depth=1
	s_and_not1_saveexec_b32 s8, s0
	s_cbranch_execnz .LBB0_25
.LBB0_17:                               ;   in Loop: Header=BB0_3 Depth=1
	s_or_b32 exec_lo, exec_lo, s8
	s_and_saveexec_b32 s8, s1
	s_cbranch_execz .LBB0_2
	s_branch .LBB0_28
.LBB0_18:                               ;   in Loop: Header=BB0_3 Depth=1
	s_mov_b32 s8, -1
	s_mov_b32 s1, exec_lo
	v_cmpx_eq_u16_e32 13, v1
	s_cbranch_execz .LBB0_24
; %bb.19:                               ;   in Loop: Header=BB0_3 Depth=1
	s_mov_b32 s9, exec_lo
	s_mov_b32 s8, exec_lo
	v_mbcnt_lo_u32_b32 v24, s9, 0
                                        ; implicit-def: $vgpr10_vgpr11
	s_delay_alu instid0(VALU_DEP_1)
	v_cmpx_eq_u32_e32 0, v24
	s_cbranch_execz .LBB0_21
; %bb.20:                               ;   in Loop: Header=BB0_3 Depth=1
	s_bcnt1_i32_b32 s9, s9
	s_delay_alu instid0(SALU_CYCLE_1)
	v_mov_b32_e32 v1, s9
	global_atomic_add_u64 v[10:11], v2, v[1:2], s[2:3] glc
.LBB0_21:                               ;   in Loop: Header=BB0_3 Depth=1
	s_or_b32 exec_lo, exec_lo, s8
	s_waitcnt vmcnt(0)
	v_readfirstlane_b32 s8, v10
	v_readfirstlane_b32 s9, v11
	s_delay_alu instid0(VALU_DEP_2) | instskip(NEXT) | instid1(VALU_DEP_1)
	v_add_co_u32 v10, s8, s8, v24
	v_add_co_ci_u32_e64 v11, null, s9, 0, s8
	s_mov_b32 s8, exec_lo
	s_delay_alu instid0(VALU_DEP_1)
	v_cmpx_gt_i64_e32 0x5f5e100, v[10:11]
	s_cbranch_execz .LBB0_23
; %bb.22:                               ;   in Loop: Header=BB0_3 Depth=1
	ds_load_b64 v[24:25], v14
	v_lshlrev_b64 v[10:11], 3, v[10:11]
	s_delay_alu instid0(VALU_DEP_1) | instskip(NEXT) | instid1(VALU_DEP_2)
	v_add_co_u32 v10, vcc_lo, s5, v10
	v_add_co_ci_u32_e32 v11, vcc_lo, s6, v11, vcc_lo
	s_waitcnt lgkmcnt(0)
	global_store_b64 v[10:11], v[24:25], off
.LBB0_23:                               ;   in Loop: Header=BB0_3 Depth=1
	s_or_b32 exec_lo, exec_lo, s8
	s_delay_alu instid0(SALU_CYCLE_1)
	s_xor_b32 s8, exec_lo, -1
.LBB0_24:                               ;   in Loop: Header=BB0_3 Depth=1
	s_or_b32 exec_lo, exec_lo, s1
	s_delay_alu instid0(SALU_CYCLE_1)
	s_and_b32 s1, s8, exec_lo
                                        ; implicit-def: $vgpr1
	s_and_not1_saveexec_b32 s8, s0
	s_cbranch_execz .LBB0_17
.LBB0_25:                               ;   in Loop: Header=BB0_3 Depth=1
	s_mov_b32 s0, -1
	s_mov_b32 s9, exec_lo
	v_cmpx_eq_u16_e32 1, v1
	s_cbranch_execz .LBB0_27
; %bb.26:                               ;   in Loop: Header=BB0_3 Depth=1
	s_add_u32 s0, 0x3c3dd, s7
	s_addc_u32 s11, 0, 0
	v_add_co_u32 v11, s0, 0xf0000000, s0
	s_delay_alu instid0(VALU_DEP_1) | instskip(SKIP_2) | instid1(VALU_DEP_3)
	s_cmp_lg_u32 s0, 0
	v_ashrrev_i32_e32 v10, 31, v9
	v_sub_co_u32 v1, vcc_lo, v5, v3
	v_readfirstlane_b32 s10, v11
	s_addc_u32 s0, s11, 0x4000f
	v_sub_co_ci_u32_e32 v26, vcc_lo, v6, v4, vcc_lo
	s_mul_i32 s12, s0, 0xffffc001
	s_delay_alu instid0(VALU_DEP_2) | instskip(SKIP_2) | instid1(SALU_CYCLE_1)
	s_mul_hi_u32 s11, s10, 0xffffc001
	v_mad_u64_u32 v[24:25], null, 0x1ffff, v1, v[9:10]
	s_sub_i32 s11, s11, s10
	s_add_i32 s11, s11, s12
	s_mul_i32 s12, s10, 0xffffc001
	s_mul_i32 s13, s10, s11
	s_mul_hi_u32 s14, s10, s12
	s_mul_hi_u32 s10, s10, s11
	s_add_u32 s13, s14, s13
	s_mul_i32 s15, s0, s12
	s_addc_u32 s10, 0, s10
	s_mul_hi_u32 s12, s0, s12
	s_mul_hi_u32 s14, s0, s11
	s_add_u32 s13, s13, s15
	s_addc_u32 s10, s10, s12
	s_mul_i32 s11, s0, s11
	s_addc_u32 s12, s14, 0
	v_mov_b32_e32 v1, v25
	s_add_u32 s10, s10, s11
	s_addc_u32 s11, 0, s12
	v_add_co_u32 v29, s10, v11, s10
	s_delay_alu instid0(VALU_DEP_1) | instskip(SKIP_2) | instid1(VALU_DEP_2)
	s_cmp_lg_u32 s10, 0
	v_mad_u64_u32 v[10:11], null, 0x1ffff, v26, v[1:2]
	s_addc_u32 s0, s0, s11
	v_mul_hi_u32 v1, v24, v29
	v_mad_u64_u32 v[25:26], null, v24, s0, 0
	s_delay_alu instid0(VALU_DEP_3) | instskip(NEXT) | instid1(VALU_DEP_2)
	v_mad_u64_u32 v[27:28], null, v10, v29, 0
	v_add_co_u32 v1, vcc_lo, v1, v25
	s_delay_alu instid0(VALU_DEP_3) | instskip(SKIP_1) | instid1(VALU_DEP_3)
	v_add_co_ci_u32_e32 v11, vcc_lo, 0, v26, vcc_lo
	v_mad_u64_u32 v[25:26], null, v10, s0, 0
	v_add_co_u32 v1, vcc_lo, v1, v27
	s_delay_alu instid0(VALU_DEP_3) | instskip(NEXT) | instid1(VALU_DEP_3)
	v_add_co_ci_u32_e32 v1, vcc_lo, v11, v28, vcc_lo
	v_add_co_ci_u32_e32 v11, vcc_lo, 0, v26, vcc_lo
	s_delay_alu instid0(VALU_DEP_2) | instskip(NEXT) | instid1(VALU_DEP_2)
	v_add_co_u32 v1, vcc_lo, v1, v25
	v_add_co_ci_u32_e32 v11, vcc_lo, 0, v11, vcc_lo
	s_delay_alu instid0(VALU_DEP_2) | instskip(NEXT) | instid1(VALU_DEP_1)
	v_mad_u64_u32 v[25:26], null, 0x3fff, v1, 0
	v_mov_b32_e32 v1, v26
	s_delay_alu instid0(VALU_DEP_1) | instskip(NEXT) | instid1(VALU_DEP_3)
	v_mad_u64_u32 v[26:27], null, 0x3fff, v11, v[1:2]
	v_sub_co_u32 v1, vcc_lo, v24, v25
	s_delay_alu instid0(VALU_DEP_2) | instskip(NEXT) | instid1(VALU_DEP_2)
	v_sub_co_ci_u32_e32 v10, vcc_lo, v10, v26, vcc_lo
	v_subrev_co_u32 v11, vcc_lo, 0x3fff, v1
	s_delay_alu instid0(VALU_DEP_2) | instskip(NEXT) | instid1(VALU_DEP_2)
	v_subrev_co_ci_u32_e32 v24, vcc_lo, 0, v10, vcc_lo
	v_cmp_lt_u32_e32 vcc_lo, 0x3ffe, v11
	v_cmp_eq_u32_e64 s0, 0, v10
	v_cndmask_b32_e64 v25, 0, -1, vcc_lo
	v_cmp_lt_u32_e32 vcc_lo, 0x3ffe, v1
	v_cndmask_b32_e64 v26, 0, -1, vcc_lo
	v_cmp_eq_u32_e32 vcc_lo, 0, v24
	s_delay_alu instid0(VALU_DEP_4) | instskip(SKIP_2) | instid1(VALU_DEP_3)
	v_cndmask_b32_e32 v25, -1, v25, vcc_lo
	v_subrev_co_u32 v27, vcc_lo, 0x3fff, v11
	v_subrev_co_ci_u32_e32 v28, vcc_lo, 0, v24, vcc_lo
	v_cmp_ne_u32_e32 vcc_lo, 0, v25
	v_cndmask_b32_e64 v25, -1, v26, s0
	s_delay_alu instid0(VALU_DEP_3) | instskip(SKIP_1) | instid1(VALU_DEP_3)
	v_cndmask_b32_e32 v24, v24, v28, vcc_lo
	v_cndmask_b32_e32 v26, v11, v27, vcc_lo
	v_cmp_ne_u32_e32 vcc_lo, 0, v25
	s_delay_alu instid0(VALU_DEP_2) | instskip(NEXT) | instid1(VALU_DEP_1)
	v_dual_cndmask_b32 v11, v10, v24 :: v_dual_cndmask_b32 v10, v1, v26
	v_cmp_eq_u64_e32 vcc_lo, v[10:11], v[7:8]
	s_or_not1_b32 s0, vcc_lo, exec_lo
.LBB0_27:                               ;   in Loop: Header=BB0_3 Depth=1
	s_or_b32 exec_lo, exec_lo, s9
	s_delay_alu instid0(SALU_CYCLE_1) | instskip(SKIP_1) | instid1(SALU_CYCLE_1)
	s_and_not1_b32 s1, s1, exec_lo
	s_and_b32 s0, s0, exec_lo
	s_or_b32 s1, s1, s0
	s_or_b32 exec_lo, exec_lo, s8
	s_and_saveexec_b32 s8, s1
	s_cbranch_execz .LBB0_2
.LBB0_28:                               ;   in Loop: Header=BB0_3 Depth=1
	v_add_nc_u16 v1, v23, 1
	v_add_nc_u16 v10, v23, -14
	s_mov_b32 s9, exec_lo
	s_delay_alu instid0(VALU_DEP_2) | instskip(NEXT) | instid1(VALU_DEP_1)
	v_bfe_i32 v1, v1, 0, 8
	v_cmp_gt_i16_e32 vcc_lo, 8, v1
	v_cmpx_ne_u64_e32 0, v[3:4]
	s_cbranch_execz .LBB0_34
; %bb.29:                               ;   in Loop: Header=BB0_3 Depth=1
	v_ctz_i32_b32_e32 v4, v4
	v_ctz_i32_b32_e32 v3, v3
	s_mov_b32 s10, exec_lo
	s_delay_alu instid0(VALU_DEP_2) | instskip(NEXT) | instid1(VALU_DEP_1)
	v_add_nc_u32_e32 v4, 32, v4
	v_min_u32_e32 v3, v3, v4
	s_delay_alu instid0(VALU_DEP_1) | instskip(NEXT) | instid1(VALU_DEP_1)
	v_add_nc_u16 v3, v10, v3
	v_and_b32_e32 v4, 0xff, v3
	s_delay_alu instid0(VALU_DEP_1)
	v_cmpx_gt_u16_e32 7, v4
	s_cbranch_execz .LBB0_33
; %bb.30:                               ;   in Loop: Header=BB0_3 Depth=1
	v_lshrrev_b32_e32 v11, v3, v9
	v_cmp_ne_u16_e64 s0, 0, v4
	s_delay_alu instid0(VALU_DEP_2) | instskip(NEXT) | instid1(VALU_DEP_2)
	v_and_b32_e32 v11, 1, v11
	s_or_b32 s0, vcc_lo, s0
	s_delay_alu instid0(VALU_DEP_1) | instskip(NEXT) | instid1(VALU_DEP_1)
	v_cmp_eq_u32_e64 s1, 1, v11
	s_and_b32 s1, s0, s1
	s_delay_alu instid0(SALU_CYCLE_1)
	s_and_saveexec_b32 s0, s1
	s_cbranch_execz .LBB0_32
; %bb.31:                               ;   in Loop: Header=BB0_3 Depth=1
	v_mov_b32_e32 v16, v18
	ds_store_b8 v19, v1
	ds_store_b8 v21, v3
	;; [unrolled: 1-line block ×4, first 2 shown]
.LBB0_32:                               ;   in Loop: Header=BB0_3 Depth=1
	s_or_b32 exec_lo, exec_lo, s0
.LBB0_33:                               ;   in Loop: Header=BB0_3 Depth=1
	s_delay_alu instid0(SALU_CYCLE_1)
	s_or_b32 exec_lo, exec_lo, s10
.LBB0_34:                               ;   in Loop: Header=BB0_3 Depth=1
	s_delay_alu instid0(SALU_CYCLE_1) | instskip(NEXT) | instid1(SALU_CYCLE_1)
	s_or_b32 exec_lo, exec_lo, s9
	s_mov_b32 s9, exec_lo
	v_cmpx_ne_u64_e32 0, v[5:6]
	s_cbranch_execz .LBB0_40
; %bb.35:                               ;   in Loop: Header=BB0_3 Depth=1
	v_ctz_i32_b32_e32 v3, v6
	v_ctz_i32_b32_e32 v4, v5
	s_mov_b32 s10, exec_lo
	s_delay_alu instid0(VALU_DEP_2) | instskip(NEXT) | instid1(VALU_DEP_1)
	v_add_nc_u32_e32 v3, 32, v3
	v_min_u32_e32 v3, v4, v3
	s_delay_alu instid0(VALU_DEP_1) | instskip(NEXT) | instid1(VALU_DEP_1)
	v_add_nc_u16 v3, v10, v3
	v_and_b32_e32 v4, 0xff, v3
	s_delay_alu instid0(VALU_DEP_1)
	v_cmpx_gt_u16_e32 7, v4
	s_cbranch_execz .LBB0_39
; %bb.36:                               ;   in Loop: Header=BB0_3 Depth=1
	v_lshrrev_b32_e32 v5, v3, v9
	v_cmp_ne_u16_e64 s0, 0, v4
	s_delay_alu instid0(VALU_DEP_2) | instskip(NEXT) | instid1(VALU_DEP_2)
	v_and_b32_e32 v5, 1, v5
	s_or_b32 s0, vcc_lo, s0
	s_delay_alu instid0(VALU_DEP_1) | instskip(NEXT) | instid1(VALU_DEP_1)
	v_cmp_eq_u32_e64 s1, 1, v5
	s_and_b32 s1, s0, s1
	s_delay_alu instid0(SALU_CYCLE_1)
	s_and_saveexec_b32 s0, s1
	s_cbranch_execz .LBB0_38
; %bb.37:                               ;   in Loop: Header=BB0_3 Depth=1
	v_mad_u32_u24 v4, 0xa8, v0, v16
	v_add_nc_u32_e32 v16, 4, v16
	ds_store_b8 v4, v1 offset:960
	ds_store_b8 v4, v3 offset:961
	;; [unrolled: 1-line block ×4, first 2 shown]
.LBB0_38:                               ;   in Loop: Header=BB0_3 Depth=1
	s_or_b32 exec_lo, exec_lo, s0
.LBB0_39:                               ;   in Loop: Header=BB0_3 Depth=1
	s_delay_alu instid0(SALU_CYCLE_1)
	s_or_b32 exec_lo, exec_lo, s10
.LBB0_40:                               ;   in Loop: Header=BB0_3 Depth=1
	s_delay_alu instid0(SALU_CYCLE_1) | instskip(SKIP_2) | instid1(VALU_DEP_1)
	s_or_b32 exec_lo, exec_lo, s9
	v_bfe_i32 v3, v17, 0, 8
	s_mov_b32 s0, exec_lo
	v_cmpx_gt_i16_e32 7, v3
	s_cbranch_execz .LBB0_1
; %bb.41:                               ;   in Loop: Header=BB0_3 Depth=1
	v_lshlrev_b16 v3, 8, v17
	v_or_b32_e32 v1, 0xffffff00, v1
	v_mad_u32_u24 v5, 0xa8, v0, v16
	v_add_nc_u32_e32 v16, 8, v16
	s_delay_alu instid0(VALU_DEP_4) | instskip(NEXT) | instid1(VALU_DEP_4)
	v_or_b32_e32 v3, 1, v3
	v_and_b32_e32 v1, 0xffff, v1
	s_delay_alu instid0(VALU_DEP_2) | instskip(NEXT) | instid1(VALU_DEP_2)
	v_lshlrev_b32_e32 v3, 16, v3
	v_lshl_or_b32 v4, v17, 24, v1
	s_delay_alu instid0(VALU_DEP_2)
	v_or_b32_e32 v3, v1, v3
	ds_store_b64 v5, v[3:4] offset:960
	s_branch .LBB0_1
.LBB0_42:
	s_nop 0
	s_sendmsg sendmsg(MSG_DEALLOC_VGPRS)
	s_endpgm
	.section	.rodata,"a",@progbits
	.p2align	6, 0x0
	.amdhsa_kernel _Z7dfs_gpuILi7EEvPl
		.amdhsa_group_segment_fixed_size 1904
		.amdhsa_private_segment_fixed_size 0
		.amdhsa_kernarg_size 8
		.amdhsa_user_sgpr_count 15
		.amdhsa_user_sgpr_dispatch_ptr 0
		.amdhsa_user_sgpr_queue_ptr 0
		.amdhsa_user_sgpr_kernarg_segment_ptr 1
		.amdhsa_user_sgpr_dispatch_id 0
		.amdhsa_user_sgpr_private_segment_size 0
		.amdhsa_wavefront_size32 1
		.amdhsa_uses_dynamic_stack 0
		.amdhsa_enable_private_segment 0
		.amdhsa_system_sgpr_workgroup_id_x 1
		.amdhsa_system_sgpr_workgroup_id_y 0
		.amdhsa_system_sgpr_workgroup_id_z 0
		.amdhsa_system_sgpr_workgroup_info 0
		.amdhsa_system_vgpr_workitem_id 0
		.amdhsa_next_free_vgpr 30
		.amdhsa_next_free_sgpr 16
		.amdhsa_reserve_vcc 1
		.amdhsa_float_round_mode_32 0
		.amdhsa_float_round_mode_16_64 0
		.amdhsa_float_denorm_mode_32 3
		.amdhsa_float_denorm_mode_16_64 3
		.amdhsa_dx10_clamp 1
		.amdhsa_ieee_mode 1
		.amdhsa_fp16_overflow 0
		.amdhsa_workgroup_processor_mode 1
		.amdhsa_memory_ordered 1
		.amdhsa_forward_progress 0
		.amdhsa_shared_vgpr_count 0
		.amdhsa_exception_fp_ieee_invalid_op 0
		.amdhsa_exception_fp_denorm_src 0
		.amdhsa_exception_fp_ieee_div_zero 0
		.amdhsa_exception_fp_ieee_overflow 0
		.amdhsa_exception_fp_ieee_underflow 0
		.amdhsa_exception_fp_ieee_inexact 0
		.amdhsa_exception_int_div_zero 0
	.end_amdhsa_kernel
	.section	.text._Z7dfs_gpuILi7EEvPl,"axG",@progbits,_Z7dfs_gpuILi7EEvPl,comdat
.Lfunc_end0:
	.size	_Z7dfs_gpuILi7EEvPl, .Lfunc_end0-_Z7dfs_gpuILi7EEvPl
                                        ; -- End function
	.section	.AMDGPU.csdata,"",@progbits
; Kernel info:
; codeLenInByte = 1960
; NumSgprs: 18
; NumVgprs: 30
; ScratchSize: 0
; MemoryBound: 0
; FloatMode: 240
; IeeeMode: 1
; LDSByteSize: 1904 bytes/workgroup (compile time only)
; SGPRBlocks: 2
; VGPRBlocks: 3
; NumSGPRsForWavesPerEU: 18
; NumVGPRsForWavesPerEU: 30
; Occupancy: 16
; WaveLimiterHint : 0
; COMPUTE_PGM_RSRC2:SCRATCH_EN: 0
; COMPUTE_PGM_RSRC2:USER_SGPR: 15
; COMPUTE_PGM_RSRC2:TRAP_HANDLER: 0
; COMPUTE_PGM_RSRC2:TGID_X_EN: 1
; COMPUTE_PGM_RSRC2:TGID_Y_EN: 0
; COMPUTE_PGM_RSRC2:TGID_Z_EN: 0
; COMPUTE_PGM_RSRC2:TIDIG_COMP_CNT: 0
	.section	.text._Z7dfs_gpuILi8EEvPl,"axG",@progbits,_Z7dfs_gpuILi8EEvPl,comdat
	.protected	_Z7dfs_gpuILi8EEvPl     ; -- Begin function _Z7dfs_gpuILi8EEvPl
	.globl	_Z7dfs_gpuILi8EEvPl
	.p2align	8
	.type	_Z7dfs_gpuILi8EEvPl,@function
_Z7dfs_gpuILi8EEvPl:                    ; @_Z7dfs_gpuILi8EEvPl
; %bb.0:
	s_load_b64 s[2:3], s[0:1], 0x0
	v_dual_mov_b32 v5, 0xff :: v_dual_mov_b32 v2, 0
	v_lshl_add_u32 v7, s15, 2, v0
	s_movk_i32 s0, 0x440
	v_mov_b32_e32 v6, 0xff00
	s_delay_alu instid0(VALU_DEP_3)
	v_dual_mov_b32 v18, 4 :: v_dual_mov_b32 v3, v2
	v_mov_b32_e32 v12, 1
	v_mul_u32_u24_e32 v13, 0x110, v0
	v_mov_b32_e32 v1, v2
	v_mov_b32_e32 v4, v2
	v_mul_u32_u24_e32 v9, 0x44, v0
	v_lshl_add_u32 v14, v0, 3, 0x850
	v_mad_u32_u24 v15, 0xc0, v0, s0
	v_ashrrev_i32_e32 v8, 31, v7
	v_mul_u32_u24_e32 v10, 0xc0, v0
	s_mov_b32 s4, 0
	s_mov_b32 s7, 0x103c3ce1
	ds_store_b128 v13, v[1:4]
	s_waitcnt lgkmcnt(0)
	s_add_u32 s5, s2, 8
	s_addc_u32 s6, s3, 0
	ds_store_b32 v9, v5 offset:1856
	ds_store_b32 v10, v6 offset:1088
	s_branch .LBB1_3
.LBB1_1:                                ;   in Loop: Header=BB1_3 Depth=1
	s_or_b32 exec_lo, exec_lo, s0
.LBB1_2:                                ;   in Loop: Header=BB1_3 Depth=1
	s_delay_alu instid0(SALU_CYCLE_1) | instskip(SKIP_3) | instid1(SALU_CYCLE_1)
	s_or_b32 exec_lo, exec_lo, s8
	v_cmp_eq_u32_e32 vcc_lo, 0, v16
	v_mov_b32_e32 v18, v16
	s_or_b32 s4, vcc_lo, s4
	s_and_not1_b32 exec_lo, exec_lo, s4
	s_cbranch_execz .LBB1_42
.LBB1_3:                                ; =>This Inner Loop Header: Depth=1
	s_delay_alu instid0(VALU_DEP_1) | instskip(SKIP_2) | instid1(VALU_DEP_2)
	v_add_nc_u32_e32 v16, -4, v18
	v_add_nc_u32_e32 v1, v18, v15
	s_mov_b32 s1, exec_lo
	v_add_nc_u32_e32 v19, v15, v16
	s_delay_alu instid0(VALU_DEP_2)
	v_add_nc_u32_e32 v20, -2, v1
	v_add_nc_u32_e32 v21, -3, v1
	;; [unrolled: 1-line block ×3, first 2 shown]
	ds_load_u8 v23, v19
	ds_load_u8 v25, v20
	ds_load_i8 v11, v21
	s_waitcnt lgkmcnt(2)
	v_bfe_i32 v24, v23, 0, 8
	s_waitcnt lgkmcnt(0)
	v_cmp_gt_i16_e32 vcc_lo, 0, v11
	s_delay_alu instid0(VALU_DEP_2) | instskip(SKIP_1) | instid1(VALU_DEP_2)
	v_lshlrev_b32_e32 v3, 4, v24
	v_lshlrev_b32_e32 v4, 2, v24
	v_add_nc_u32_e32 v10, v13, v3
	s_delay_alu instid0(VALU_DEP_2)
	v_mad_u32_u24 v1, 0x44, v0, v4
	ds_load_u8 v17, v22
	ds_load_b128 v[3:6], v10
	ds_load_b32 v9, v1 offset:1856
	s_waitcnt lgkmcnt(1)
	ds_store_b128 v10, v[3:6] offset:16
	v_cmpx_ne_u16_e32 0, v25
	s_xor_b32 s1, exec_lo, s1
	s_cbranch_execz .LBB1_9
; %bb.4:                                ;   in Loop: Header=BB1_3 Depth=1
	s_and_saveexec_b32 s0, vcc_lo
	s_delay_alu instid0(SALU_CYCLE_1)
	s_xor_b32 s0, exec_lo, s0
	s_cbranch_execz .LBB1_6
; %bb.5:                                ;   in Loop: Header=BB1_3 Depth=1
	v_lshrrev_b64 v[24:25], v24, 0x8000
	v_add_nc_u16 v17, v17, 1
                                        ; implicit-def: $vgpr11
	s_delay_alu instid0(VALU_DEP_2) | instskip(NEXT) | instid1(VALU_DEP_3)
	v_or_b32_e32 v6, v6, v25
	v_or_b32_e32 v5, v5, v24
	ds_store_b64 v10, v[5:6] offset:24
                                        ; implicit-def: $vgpr10
.LBB1_6:                                ;   in Loop: Header=BB1_3 Depth=1
	s_and_not1_saveexec_b32 s8, s0
	s_cbranch_execz .LBB1_8
; %bb.7:                                ;   in Loop: Header=BB1_3 Depth=1
	v_bfe_i32 v11, v11, 0, 16
	v_add_co_u32 v24, s0, v5, -1
	s_delay_alu instid0(VALU_DEP_1) | instskip(NEXT) | instid1(VALU_DEP_3)
	v_add_co_ci_u32_e64 v25, s0, -1, v6, s0
	v_lshlrev_b32_e64 v26, v11, 1
	v_add_nc_u32_e32 v11, v14, v11
	s_delay_alu instid0(VALU_DEP_4) | instskip(NEXT) | instid1(VALU_DEP_4)
	v_and_b32_e32 v5, v24, v5
	v_and_b32_e32 v6, v25, v6
	ds_store_b8 v11, v23
	ds_store_b64 v10, v[5:6] offset:24
	s_waitcnt lgkmcnt(3)
	v_xor_b32_e32 v9, v9, v26
.LBB1_8:                                ;   in Loop: Header=BB1_3 Depth=1
	s_or_b32 exec_lo, exec_lo, s8
                                        ; implicit-def: $vgpr11
                                        ; implicit-def: $vgpr10
                                        ; implicit-def: $vgpr24
.LBB1_9:                                ;   in Loop: Header=BB1_3 Depth=1
	s_and_not1_saveexec_b32 s0, s1
	s_cbranch_execz .LBB1_15
; %bb.10:                               ;   in Loop: Header=BB1_3 Depth=1
	s_and_saveexec_b32 s1, vcc_lo
	s_delay_alu instid0(SALU_CYCLE_1)
	s_xor_b32 s1, exec_lo, s1
	s_cbranch_execz .LBB1_12
; %bb.11:                               ;   in Loop: Header=BB1_3 Depth=1
	v_lshrrev_b64 v[24:25], v24, 0x8000
	v_add_nc_u16 v17, v17, 1
                                        ; implicit-def: $vgpr11
	s_delay_alu instid0(VALU_DEP_2) | instskip(NEXT) | instid1(VALU_DEP_3)
	v_or_b32_e32 v4, v25, v4
	v_or_b32_e32 v3, v24, v3
	ds_store_b64 v10, v[3:4] offset:16
                                        ; implicit-def: $vgpr10
.LBB1_12:                               ;   in Loop: Header=BB1_3 Depth=1
	s_and_not1_saveexec_b32 s1, s1
	s_cbranch_execz .LBB1_14
; %bb.13:                               ;   in Loop: Header=BB1_3 Depth=1
	v_bfe_i32 v11, v11, 0, 16
	v_add_co_u32 v24, vcc_lo, v3, -1
	v_add_co_ci_u32_e32 v25, vcc_lo, -1, v4, vcc_lo
	s_delay_alu instid0(VALU_DEP_3) | instskip(SKIP_1) | instid1(VALU_DEP_4)
	v_lshlrev_b32_e64 v26, v11, 1
	v_add_nc_u32_e32 v11, v14, v11
	v_and_b32_e32 v3, v24, v3
	s_delay_alu instid0(VALU_DEP_4)
	v_and_b32_e32 v4, v25, v4
	ds_store_b8 v11, v23
	ds_store_b64 v10, v[3:4] offset:16
	s_waitcnt lgkmcnt(3)
	v_xor_b32_e32 v9, v9, v26
.LBB1_14:                               ;   in Loop: Header=BB1_3 Depth=1
	s_or_b32 exec_lo, exec_lo, s1
.LBB1_15:                               ;   in Loop: Header=BB1_3 Depth=1
	s_delay_alu instid0(SALU_CYCLE_1)
	s_or_b32 exec_lo, exec_lo, s0
	v_add_nc_u32_e32 v1, 0x740, v1
	s_mov_b32 s1, 0
	s_mov_b32 s0, exec_lo
	s_waitcnt lgkmcnt(1)
	ds_store_b32 v1, v9 offset:4
	v_and_b32_e32 v1, 0xff, v23
	s_delay_alu instid0(VALU_DEP_1)
	v_cmpx_lt_i16_e32 14, v1
	s_xor_b32 s0, exec_lo, s0
	s_cbranch_execnz .LBB1_18
; %bb.16:                               ;   in Loop: Header=BB1_3 Depth=1
	s_and_not1_saveexec_b32 s8, s0
	s_cbranch_execnz .LBB1_25
.LBB1_17:                               ;   in Loop: Header=BB1_3 Depth=1
	s_or_b32 exec_lo, exec_lo, s8
	s_and_saveexec_b32 s8, s1
	s_cbranch_execz .LBB1_2
	s_branch .LBB1_28
.LBB1_18:                               ;   in Loop: Header=BB1_3 Depth=1
	s_mov_b32 s8, -1
	s_mov_b32 s1, exec_lo
	v_cmpx_eq_u16_e32 15, v1
	s_cbranch_execz .LBB1_24
; %bb.19:                               ;   in Loop: Header=BB1_3 Depth=1
	s_mov_b32 s9, exec_lo
	s_mov_b32 s8, exec_lo
	v_mbcnt_lo_u32_b32 v24, s9, 0
                                        ; implicit-def: $vgpr10_vgpr11
	s_delay_alu instid0(VALU_DEP_1)
	v_cmpx_eq_u32_e32 0, v24
	s_cbranch_execz .LBB1_21
; %bb.20:                               ;   in Loop: Header=BB1_3 Depth=1
	s_bcnt1_i32_b32 s9, s9
	s_delay_alu instid0(SALU_CYCLE_1)
	v_mov_b32_e32 v1, s9
	global_atomic_add_u64 v[10:11], v2, v[1:2], s[2:3] glc
.LBB1_21:                               ;   in Loop: Header=BB1_3 Depth=1
	s_or_b32 exec_lo, exec_lo, s8
	s_waitcnt vmcnt(0)
	v_readfirstlane_b32 s8, v10
	v_readfirstlane_b32 s9, v11
	s_delay_alu instid0(VALU_DEP_2) | instskip(NEXT) | instid1(VALU_DEP_1)
	v_add_co_u32 v10, s8, s8, v24
	v_add_co_ci_u32_e64 v11, null, s9, 0, s8
	s_mov_b32 s8, exec_lo
	s_delay_alu instid0(VALU_DEP_1)
	v_cmpx_gt_i64_e32 0x5f5e100, v[10:11]
	s_cbranch_execz .LBB1_23
; %bb.22:                               ;   in Loop: Header=BB1_3 Depth=1
	ds_load_b64 v[24:25], v14
	v_lshlrev_b64 v[10:11], 3, v[10:11]
	s_delay_alu instid0(VALU_DEP_1) | instskip(NEXT) | instid1(VALU_DEP_2)
	v_add_co_u32 v10, vcc_lo, s5, v10
	v_add_co_ci_u32_e32 v11, vcc_lo, s6, v11, vcc_lo
	s_waitcnt lgkmcnt(0)
	global_store_b64 v[10:11], v[24:25], off
.LBB1_23:                               ;   in Loop: Header=BB1_3 Depth=1
	s_or_b32 exec_lo, exec_lo, s8
	s_delay_alu instid0(SALU_CYCLE_1)
	s_xor_b32 s8, exec_lo, -1
.LBB1_24:                               ;   in Loop: Header=BB1_3 Depth=1
	s_or_b32 exec_lo, exec_lo, s1
	s_delay_alu instid0(SALU_CYCLE_1)
	s_and_b32 s1, s8, exec_lo
                                        ; implicit-def: $vgpr1
	s_and_not1_saveexec_b32 s8, s0
	s_cbranch_execz .LBB1_17
.LBB1_25:                               ;   in Loop: Header=BB1_3 Depth=1
	s_mov_b32 s0, -1
	s_mov_b32 s9, exec_lo
	v_cmpx_eq_u16_e32 2, v1
	s_cbranch_execz .LBB1_27
; %bb.26:                               ;   in Loop: Header=BB1_3 Depth=1
	s_add_u32 s0, 0x3c3dd, s7
	s_addc_u32 s11, 0, 0
	v_add_co_u32 v11, s0, 0xf0000000, s0
	s_delay_alu instid0(VALU_DEP_1) | instskip(SKIP_2) | instid1(VALU_DEP_3)
	s_cmp_lg_u32 s0, 0
	v_ashrrev_i32_e32 v10, 31, v9
	v_sub_co_u32 v1, vcc_lo, v5, v3
	v_readfirstlane_b32 s10, v11
	s_addc_u32 s0, s11, 0x4000f
	v_sub_co_ci_u32_e32 v26, vcc_lo, v6, v4, vcc_lo
	s_mul_i32 s12, s0, 0xffffc001
	s_delay_alu instid0(VALU_DEP_2) | instskip(SKIP_2) | instid1(SALU_CYCLE_1)
	s_mul_hi_u32 s11, s10, 0xffffc001
	v_mad_u64_u32 v[24:25], null, 0x1ffff, v1, v[9:10]
	s_sub_i32 s11, s11, s10
	s_add_i32 s11, s11, s12
	s_mul_i32 s12, s10, 0xffffc001
	s_mul_i32 s13, s10, s11
	s_mul_hi_u32 s14, s10, s12
	s_mul_hi_u32 s10, s10, s11
	s_add_u32 s13, s14, s13
	s_mul_i32 s15, s0, s12
	s_addc_u32 s10, 0, s10
	s_mul_hi_u32 s12, s0, s12
	s_mul_hi_u32 s14, s0, s11
	s_add_u32 s13, s13, s15
	s_addc_u32 s10, s10, s12
	s_mul_i32 s11, s0, s11
	s_addc_u32 s12, s14, 0
	v_mov_b32_e32 v1, v25
	s_add_u32 s10, s10, s11
	s_addc_u32 s11, 0, s12
	v_add_co_u32 v29, s10, v11, s10
	s_delay_alu instid0(VALU_DEP_1) | instskip(SKIP_2) | instid1(VALU_DEP_2)
	s_cmp_lg_u32 s10, 0
	v_mad_u64_u32 v[10:11], null, 0x1ffff, v26, v[1:2]
	s_addc_u32 s0, s0, s11
	v_mul_hi_u32 v1, v24, v29
	v_mad_u64_u32 v[25:26], null, v24, s0, 0
	s_delay_alu instid0(VALU_DEP_3) | instskip(NEXT) | instid1(VALU_DEP_2)
	v_mad_u64_u32 v[27:28], null, v10, v29, 0
	v_add_co_u32 v1, vcc_lo, v1, v25
	s_delay_alu instid0(VALU_DEP_3) | instskip(SKIP_1) | instid1(VALU_DEP_3)
	v_add_co_ci_u32_e32 v11, vcc_lo, 0, v26, vcc_lo
	v_mad_u64_u32 v[25:26], null, v10, s0, 0
	v_add_co_u32 v1, vcc_lo, v1, v27
	s_delay_alu instid0(VALU_DEP_3) | instskip(NEXT) | instid1(VALU_DEP_3)
	v_add_co_ci_u32_e32 v1, vcc_lo, v11, v28, vcc_lo
	v_add_co_ci_u32_e32 v11, vcc_lo, 0, v26, vcc_lo
	s_delay_alu instid0(VALU_DEP_2) | instskip(NEXT) | instid1(VALU_DEP_2)
	v_add_co_u32 v1, vcc_lo, v1, v25
	v_add_co_ci_u32_e32 v11, vcc_lo, 0, v11, vcc_lo
	s_delay_alu instid0(VALU_DEP_2) | instskip(NEXT) | instid1(VALU_DEP_1)
	v_mad_u64_u32 v[25:26], null, 0x3fff, v1, 0
	v_mov_b32_e32 v1, v26
	s_delay_alu instid0(VALU_DEP_1) | instskip(NEXT) | instid1(VALU_DEP_3)
	v_mad_u64_u32 v[26:27], null, 0x3fff, v11, v[1:2]
	v_sub_co_u32 v1, vcc_lo, v24, v25
	s_delay_alu instid0(VALU_DEP_2) | instskip(NEXT) | instid1(VALU_DEP_2)
	v_sub_co_ci_u32_e32 v10, vcc_lo, v10, v26, vcc_lo
	v_subrev_co_u32 v11, vcc_lo, 0x3fff, v1
	s_delay_alu instid0(VALU_DEP_2) | instskip(NEXT) | instid1(VALU_DEP_2)
	v_subrev_co_ci_u32_e32 v24, vcc_lo, 0, v10, vcc_lo
	v_cmp_lt_u32_e32 vcc_lo, 0x3ffe, v11
	v_cmp_eq_u32_e64 s0, 0, v10
	v_cndmask_b32_e64 v25, 0, -1, vcc_lo
	v_cmp_lt_u32_e32 vcc_lo, 0x3ffe, v1
	v_cndmask_b32_e64 v26, 0, -1, vcc_lo
	v_cmp_eq_u32_e32 vcc_lo, 0, v24
	s_delay_alu instid0(VALU_DEP_4) | instskip(SKIP_2) | instid1(VALU_DEP_3)
	v_cndmask_b32_e32 v25, -1, v25, vcc_lo
	v_subrev_co_u32 v27, vcc_lo, 0x3fff, v11
	v_subrev_co_ci_u32_e32 v28, vcc_lo, 0, v24, vcc_lo
	v_cmp_ne_u32_e32 vcc_lo, 0, v25
	v_cndmask_b32_e64 v25, -1, v26, s0
	s_delay_alu instid0(VALU_DEP_3) | instskip(SKIP_1) | instid1(VALU_DEP_3)
	v_cndmask_b32_e32 v24, v24, v28, vcc_lo
	v_cndmask_b32_e32 v26, v11, v27, vcc_lo
	v_cmp_ne_u32_e32 vcc_lo, 0, v25
	s_delay_alu instid0(VALU_DEP_2) | instskip(NEXT) | instid1(VALU_DEP_1)
	v_dual_cndmask_b32 v11, v10, v24 :: v_dual_cndmask_b32 v10, v1, v26
	v_cmp_eq_u64_e32 vcc_lo, v[10:11], v[7:8]
	s_or_not1_b32 s0, vcc_lo, exec_lo
.LBB1_27:                               ;   in Loop: Header=BB1_3 Depth=1
	s_or_b32 exec_lo, exec_lo, s9
	s_delay_alu instid0(SALU_CYCLE_1) | instskip(SKIP_1) | instid1(SALU_CYCLE_1)
	s_and_not1_b32 s1, s1, exec_lo
	s_and_b32 s0, s0, exec_lo
	s_or_b32 s1, s1, s0
	s_or_b32 exec_lo, exec_lo, s8
	s_and_saveexec_b32 s8, s1
	s_cbranch_execz .LBB1_2
.LBB1_28:                               ;   in Loop: Header=BB1_3 Depth=1
	v_add_nc_u16 v1, v23, 1
	v_add_nc_u16 v10, v23, -16
	s_mov_b32 s9, exec_lo
	s_delay_alu instid0(VALU_DEP_2) | instskip(NEXT) | instid1(VALU_DEP_1)
	v_bfe_i32 v1, v1, 0, 8
	v_cmp_gt_i16_e32 vcc_lo, 9, v1
	v_cmpx_ne_u64_e32 0, v[3:4]
	s_cbranch_execz .LBB1_34
; %bb.29:                               ;   in Loop: Header=BB1_3 Depth=1
	v_ctz_i32_b32_e32 v4, v4
	v_ctz_i32_b32_e32 v3, v3
	s_mov_b32 s10, exec_lo
	s_delay_alu instid0(VALU_DEP_2) | instskip(NEXT) | instid1(VALU_DEP_1)
	v_add_nc_u32_e32 v4, 32, v4
	v_min_u32_e32 v3, v3, v4
	s_delay_alu instid0(VALU_DEP_1) | instskip(NEXT) | instid1(VALU_DEP_1)
	v_add_nc_u16 v3, v10, v3
	v_and_b32_e32 v4, 0xff, v3
	s_delay_alu instid0(VALU_DEP_1)
	v_cmpx_gt_u16_e32 8, v4
	s_cbranch_execz .LBB1_33
; %bb.30:                               ;   in Loop: Header=BB1_3 Depth=1
	v_lshrrev_b32_e32 v11, v3, v9
	v_cmp_ne_u16_e64 s0, 0, v4
	s_delay_alu instid0(VALU_DEP_2) | instskip(NEXT) | instid1(VALU_DEP_2)
	v_and_b32_e32 v11, 1, v11
	s_or_b32 s0, vcc_lo, s0
	s_delay_alu instid0(VALU_DEP_1) | instskip(NEXT) | instid1(VALU_DEP_1)
	v_cmp_eq_u32_e64 s1, 1, v11
	s_and_b32 s1, s0, s1
	s_delay_alu instid0(SALU_CYCLE_1)
	s_and_saveexec_b32 s0, s1
	s_cbranch_execz .LBB1_32
; %bb.31:                               ;   in Loop: Header=BB1_3 Depth=1
	v_mov_b32_e32 v16, v18
	ds_store_b8 v19, v1
	ds_store_b8 v21, v3
	;; [unrolled: 1-line block ×4, first 2 shown]
.LBB1_32:                               ;   in Loop: Header=BB1_3 Depth=1
	s_or_b32 exec_lo, exec_lo, s0
.LBB1_33:                               ;   in Loop: Header=BB1_3 Depth=1
	s_delay_alu instid0(SALU_CYCLE_1)
	s_or_b32 exec_lo, exec_lo, s10
.LBB1_34:                               ;   in Loop: Header=BB1_3 Depth=1
	s_delay_alu instid0(SALU_CYCLE_1) | instskip(NEXT) | instid1(SALU_CYCLE_1)
	s_or_b32 exec_lo, exec_lo, s9
	s_mov_b32 s9, exec_lo
	v_cmpx_ne_u64_e32 0, v[5:6]
	s_cbranch_execz .LBB1_40
; %bb.35:                               ;   in Loop: Header=BB1_3 Depth=1
	v_ctz_i32_b32_e32 v3, v6
	v_ctz_i32_b32_e32 v4, v5
	s_mov_b32 s10, exec_lo
	s_delay_alu instid0(VALU_DEP_2) | instskip(NEXT) | instid1(VALU_DEP_1)
	v_add_nc_u32_e32 v3, 32, v3
	v_min_u32_e32 v3, v4, v3
	s_delay_alu instid0(VALU_DEP_1) | instskip(NEXT) | instid1(VALU_DEP_1)
	v_add_nc_u16 v3, v10, v3
	v_and_b32_e32 v4, 0xff, v3
	s_delay_alu instid0(VALU_DEP_1)
	v_cmpx_gt_u16_e32 8, v4
	s_cbranch_execz .LBB1_39
; %bb.36:                               ;   in Loop: Header=BB1_3 Depth=1
	v_lshrrev_b32_e32 v5, v3, v9
	v_cmp_ne_u16_e64 s0, 0, v4
	s_delay_alu instid0(VALU_DEP_2) | instskip(NEXT) | instid1(VALU_DEP_2)
	v_and_b32_e32 v5, 1, v5
	s_or_b32 s0, vcc_lo, s0
	s_delay_alu instid0(VALU_DEP_1) | instskip(NEXT) | instid1(VALU_DEP_1)
	v_cmp_eq_u32_e64 s1, 1, v5
	s_and_b32 s1, s0, s1
	s_delay_alu instid0(SALU_CYCLE_1)
	s_and_saveexec_b32 s0, s1
	s_cbranch_execz .LBB1_38
; %bb.37:                               ;   in Loop: Header=BB1_3 Depth=1
	v_mad_u32_u24 v4, 0xc0, v0, v16
	v_add_nc_u32_e32 v16, 4, v16
	ds_store_b8 v4, v1 offset:1088
	ds_store_b8 v4, v3 offset:1089
	;; [unrolled: 1-line block ×4, first 2 shown]
.LBB1_38:                               ;   in Loop: Header=BB1_3 Depth=1
	s_or_b32 exec_lo, exec_lo, s0
.LBB1_39:                               ;   in Loop: Header=BB1_3 Depth=1
	s_delay_alu instid0(SALU_CYCLE_1)
	s_or_b32 exec_lo, exec_lo, s10
.LBB1_40:                               ;   in Loop: Header=BB1_3 Depth=1
	s_delay_alu instid0(SALU_CYCLE_1) | instskip(SKIP_2) | instid1(VALU_DEP_1)
	s_or_b32 exec_lo, exec_lo, s9
	v_bfe_i32 v3, v17, 0, 8
	s_mov_b32 s0, exec_lo
	v_cmpx_gt_i16_e32 8, v3
	s_cbranch_execz .LBB1_1
; %bb.41:                               ;   in Loop: Header=BB1_3 Depth=1
	v_lshlrev_b16 v3, 8, v17
	v_or_b32_e32 v1, 0xffffff00, v1
	v_mad_u32_u24 v5, 0xc0, v0, v16
	v_add_nc_u32_e32 v16, 8, v16
	s_delay_alu instid0(VALU_DEP_4) | instskip(NEXT) | instid1(VALU_DEP_4)
	v_or_b32_e32 v3, 1, v3
	v_and_b32_e32 v1, 0xffff, v1
	s_delay_alu instid0(VALU_DEP_2) | instskip(NEXT) | instid1(VALU_DEP_2)
	v_lshlrev_b32_e32 v3, 16, v3
	v_lshl_or_b32 v4, v17, 24, v1
	s_delay_alu instid0(VALU_DEP_2)
	v_or_b32_e32 v3, v1, v3
	ds_store_b64 v5, v[3:4] offset:1088
	s_branch .LBB1_1
.LBB1_42:
	s_nop 0
	s_sendmsg sendmsg(MSG_DEALLOC_VGPRS)
	s_endpgm
	.section	.rodata,"a",@progbits
	.p2align	6, 0x0
	.amdhsa_kernel _Z7dfs_gpuILi8EEvPl
		.amdhsa_group_segment_fixed_size 2160
		.amdhsa_private_segment_fixed_size 0
		.amdhsa_kernarg_size 8
		.amdhsa_user_sgpr_count 15
		.amdhsa_user_sgpr_dispatch_ptr 0
		.amdhsa_user_sgpr_queue_ptr 0
		.amdhsa_user_sgpr_kernarg_segment_ptr 1
		.amdhsa_user_sgpr_dispatch_id 0
		.amdhsa_user_sgpr_private_segment_size 0
		.amdhsa_wavefront_size32 1
		.amdhsa_uses_dynamic_stack 0
		.amdhsa_enable_private_segment 0
		.amdhsa_system_sgpr_workgroup_id_x 1
		.amdhsa_system_sgpr_workgroup_id_y 0
		.amdhsa_system_sgpr_workgroup_id_z 0
		.amdhsa_system_sgpr_workgroup_info 0
		.amdhsa_system_vgpr_workitem_id 0
		.amdhsa_next_free_vgpr 30
		.amdhsa_next_free_sgpr 16
		.amdhsa_reserve_vcc 1
		.amdhsa_float_round_mode_32 0
		.amdhsa_float_round_mode_16_64 0
		.amdhsa_float_denorm_mode_32 3
		.amdhsa_float_denorm_mode_16_64 3
		.amdhsa_dx10_clamp 1
		.amdhsa_ieee_mode 1
		.amdhsa_fp16_overflow 0
		.amdhsa_workgroup_processor_mode 1
		.amdhsa_memory_ordered 1
		.amdhsa_forward_progress 0
		.amdhsa_shared_vgpr_count 0
		.amdhsa_exception_fp_ieee_invalid_op 0
		.amdhsa_exception_fp_denorm_src 0
		.amdhsa_exception_fp_ieee_div_zero 0
		.amdhsa_exception_fp_ieee_overflow 0
		.amdhsa_exception_fp_ieee_underflow 0
		.amdhsa_exception_fp_ieee_inexact 0
		.amdhsa_exception_int_div_zero 0
	.end_amdhsa_kernel
	.section	.text._Z7dfs_gpuILi8EEvPl,"axG",@progbits,_Z7dfs_gpuILi8EEvPl,comdat
.Lfunc_end1:
	.size	_Z7dfs_gpuILi8EEvPl, .Lfunc_end1-_Z7dfs_gpuILi8EEvPl
                                        ; -- End function
	.section	.AMDGPU.csdata,"",@progbits
; Kernel info:
; codeLenInByte = 1968
; NumSgprs: 18
; NumVgprs: 30
; ScratchSize: 0
; MemoryBound: 0
; FloatMode: 240
; IeeeMode: 1
; LDSByteSize: 2160 bytes/workgroup (compile time only)
; SGPRBlocks: 2
; VGPRBlocks: 3
; NumSGPRsForWavesPerEU: 18
; NumVGPRsForWavesPerEU: 30
; Occupancy: 16
; WaveLimiterHint : 0
; COMPUTE_PGM_RSRC2:SCRATCH_EN: 0
; COMPUTE_PGM_RSRC2:USER_SGPR: 15
; COMPUTE_PGM_RSRC2:TRAP_HANDLER: 0
; COMPUTE_PGM_RSRC2:TGID_X_EN: 1
; COMPUTE_PGM_RSRC2:TGID_Y_EN: 0
; COMPUTE_PGM_RSRC2:TGID_Z_EN: 0
; COMPUTE_PGM_RSRC2:TIDIG_COMP_CNT: 0
	.section	.text._Z7dfs_gpuILi11EEvPl,"axG",@progbits,_Z7dfs_gpuILi11EEvPl,comdat
	.protected	_Z7dfs_gpuILi11EEvPl    ; -- Begin function _Z7dfs_gpuILi11EEvPl
	.globl	_Z7dfs_gpuILi11EEvPl
	.p2align	8
	.type	_Z7dfs_gpuILi11EEvPl,@function
_Z7dfs_gpuILi11EEvPl:                   ; @_Z7dfs_gpuILi11EEvPl
; %bb.0:
	s_load_b64 s[2:3], s[0:1], 0x0
	v_dual_mov_b32 v5, 0x7ff :: v_dual_mov_b32 v2, 0
	v_lshl_add_u32 v7, s15, 2, v0
	s_movk_i32 s0, 0x5c0
	v_mov_b32_e32 v6, 0xff00
	s_delay_alu instid0(VALU_DEP_3)
	v_dual_mov_b32 v18, 4 :: v_dual_mov_b32 v3, v2
	v_mov_b32_e32 v12, 1
	v_mul_u32_u24_e32 v13, 0x170, v0
	v_mov_b32_e32 v1, v2
	v_mov_b32_e32 v4, v2
	v_mul_u32_u24_e32 v9, 0x5c, v0
	v_lshl_add_u32 v14, v0, 4, 0xb50
	v_mad_u32_u24 v15, 0x108, v0, s0
	v_ashrrev_i32_e32 v8, 31, v7
	v_mul_u32_u24_e32 v10, 0x108, v0
	s_mov_b32 s4, 0
	s_mov_b32 s7, 0x103c3ce1
	ds_store_b128 v13, v[1:4]
	s_waitcnt lgkmcnt(0)
	s_add_u32 s5, s2, 8
	s_addc_u32 s6, s3, 0
	ds_store_b32 v9, v5 offset:2528
	ds_store_b32 v10, v6 offset:1472
	s_branch .LBB2_3
.LBB2_1:                                ;   in Loop: Header=BB2_3 Depth=1
	s_or_b32 exec_lo, exec_lo, s0
.LBB2_2:                                ;   in Loop: Header=BB2_3 Depth=1
	s_delay_alu instid0(SALU_CYCLE_1) | instskip(SKIP_3) | instid1(SALU_CYCLE_1)
	s_or_b32 exec_lo, exec_lo, s8
	v_cmp_eq_u32_e32 vcc_lo, 0, v16
	v_mov_b32_e32 v18, v16
	s_or_b32 s4, vcc_lo, s4
	s_and_not1_b32 exec_lo, exec_lo, s4
	s_cbranch_execz .LBB2_42
.LBB2_3:                                ; =>This Inner Loop Header: Depth=1
	s_delay_alu instid0(VALU_DEP_1) | instskip(SKIP_2) | instid1(VALU_DEP_2)
	v_add_nc_u32_e32 v16, -4, v18
	v_add_nc_u32_e32 v1, v18, v15
	s_mov_b32 s1, exec_lo
	v_add_nc_u32_e32 v19, v15, v16
	s_delay_alu instid0(VALU_DEP_2)
	v_add_nc_u32_e32 v20, -2, v1
	v_add_nc_u32_e32 v21, -3, v1
	;; [unrolled: 1-line block ×3, first 2 shown]
	ds_load_u8 v23, v19
	ds_load_u8 v25, v20
	ds_load_i8 v11, v21
	s_waitcnt lgkmcnt(2)
	v_bfe_i32 v24, v23, 0, 8
	s_waitcnt lgkmcnt(0)
	v_cmp_gt_i16_e32 vcc_lo, 0, v11
	s_delay_alu instid0(VALU_DEP_2) | instskip(SKIP_1) | instid1(VALU_DEP_2)
	v_lshlrev_b32_e32 v3, 4, v24
	v_lshlrev_b32_e32 v4, 2, v24
	v_add_nc_u32_e32 v10, v13, v3
	s_delay_alu instid0(VALU_DEP_2)
	v_mad_u32_u24 v1, 0x5c, v0, v4
	ds_load_u8 v17, v22
	ds_load_b128 v[3:6], v10
	ds_load_b32 v9, v1 offset:2528
	s_waitcnt lgkmcnt(1)
	ds_store_b128 v10, v[3:6] offset:16
	v_cmpx_ne_u16_e32 0, v25
	s_xor_b32 s1, exec_lo, s1
	s_cbranch_execz .LBB2_9
; %bb.4:                                ;   in Loop: Header=BB2_3 Depth=1
	s_and_saveexec_b32 s0, vcc_lo
	s_delay_alu instid0(SALU_CYCLE_1)
	s_xor_b32 s0, exec_lo, s0
	s_cbranch_execz .LBB2_6
; %bb.5:                                ;   in Loop: Header=BB2_3 Depth=1
	v_lshrrev_b64 v[24:25], v24, 0x200000
	v_add_nc_u16 v17, v17, 1
                                        ; implicit-def: $vgpr11
	s_delay_alu instid0(VALU_DEP_2) | instskip(NEXT) | instid1(VALU_DEP_3)
	v_or_b32_e32 v6, v6, v25
	v_or_b32_e32 v5, v5, v24
	ds_store_b64 v10, v[5:6] offset:24
                                        ; implicit-def: $vgpr10
.LBB2_6:                                ;   in Loop: Header=BB2_3 Depth=1
	s_and_not1_saveexec_b32 s8, s0
	s_cbranch_execz .LBB2_8
; %bb.7:                                ;   in Loop: Header=BB2_3 Depth=1
	v_bfe_i32 v11, v11, 0, 16
	v_add_co_u32 v24, s0, v5, -1
	s_delay_alu instid0(VALU_DEP_1) | instskip(NEXT) | instid1(VALU_DEP_3)
	v_add_co_ci_u32_e64 v25, s0, -1, v6, s0
	v_lshlrev_b32_e64 v26, v11, 1
	v_add_nc_u32_e32 v11, v14, v11
	s_delay_alu instid0(VALU_DEP_4) | instskip(NEXT) | instid1(VALU_DEP_4)
	v_and_b32_e32 v5, v24, v5
	v_and_b32_e32 v6, v25, v6
	ds_store_b8 v11, v23
	ds_store_b64 v10, v[5:6] offset:24
	s_waitcnt lgkmcnt(3)
	v_xor_b32_e32 v9, v9, v26
.LBB2_8:                                ;   in Loop: Header=BB2_3 Depth=1
	s_or_b32 exec_lo, exec_lo, s8
                                        ; implicit-def: $vgpr11
                                        ; implicit-def: $vgpr10
                                        ; implicit-def: $vgpr24
.LBB2_9:                                ;   in Loop: Header=BB2_3 Depth=1
	s_and_not1_saveexec_b32 s0, s1
	s_cbranch_execz .LBB2_15
; %bb.10:                               ;   in Loop: Header=BB2_3 Depth=1
	s_and_saveexec_b32 s1, vcc_lo
	s_delay_alu instid0(SALU_CYCLE_1)
	s_xor_b32 s1, exec_lo, s1
	s_cbranch_execz .LBB2_12
; %bb.11:                               ;   in Loop: Header=BB2_3 Depth=1
	v_lshrrev_b64 v[24:25], v24, 0x200000
	v_add_nc_u16 v17, v17, 1
                                        ; implicit-def: $vgpr11
	s_delay_alu instid0(VALU_DEP_2) | instskip(NEXT) | instid1(VALU_DEP_3)
	v_or_b32_e32 v4, v25, v4
	v_or_b32_e32 v3, v24, v3
	ds_store_b64 v10, v[3:4] offset:16
                                        ; implicit-def: $vgpr10
.LBB2_12:                               ;   in Loop: Header=BB2_3 Depth=1
	s_and_not1_saveexec_b32 s1, s1
	s_cbranch_execz .LBB2_14
; %bb.13:                               ;   in Loop: Header=BB2_3 Depth=1
	v_bfe_i32 v11, v11, 0, 16
	v_add_co_u32 v24, vcc_lo, v3, -1
	v_add_co_ci_u32_e32 v25, vcc_lo, -1, v4, vcc_lo
	s_delay_alu instid0(VALU_DEP_3) | instskip(SKIP_1) | instid1(VALU_DEP_4)
	v_lshlrev_b32_e64 v26, v11, 1
	v_add_nc_u32_e32 v11, v14, v11
	v_and_b32_e32 v3, v24, v3
	s_delay_alu instid0(VALU_DEP_4)
	v_and_b32_e32 v4, v25, v4
	ds_store_b8 v11, v23
	ds_store_b64 v10, v[3:4] offset:16
	s_waitcnt lgkmcnt(3)
	v_xor_b32_e32 v9, v9, v26
.LBB2_14:                               ;   in Loop: Header=BB2_3 Depth=1
	s_or_b32 exec_lo, exec_lo, s1
.LBB2_15:                               ;   in Loop: Header=BB2_3 Depth=1
	s_delay_alu instid0(SALU_CYCLE_1)
	s_or_b32 exec_lo, exec_lo, s0
	v_add_nc_u32_e32 v1, 0x9e0, v1
	s_mov_b32 s1, 0
	s_mov_b32 s0, exec_lo
	s_waitcnt lgkmcnt(1)
	ds_store_b32 v1, v9 offset:4
	v_and_b32_e32 v1, 0xff, v23
	s_delay_alu instid0(VALU_DEP_1)
	v_cmpx_lt_i16_e32 20, v1
	s_xor_b32 s0, exec_lo, s0
	s_cbranch_execnz .LBB2_18
; %bb.16:                               ;   in Loop: Header=BB2_3 Depth=1
	s_and_not1_saveexec_b32 s8, s0
	s_cbranch_execnz .LBB2_25
.LBB2_17:                               ;   in Loop: Header=BB2_3 Depth=1
	s_or_b32 exec_lo, exec_lo, s8
	s_and_saveexec_b32 s8, s1
	s_cbranch_execz .LBB2_2
	s_branch .LBB2_28
.LBB2_18:                               ;   in Loop: Header=BB2_3 Depth=1
	s_mov_b32 s8, -1
	s_mov_b32 s1, exec_lo
	v_cmpx_eq_u16_e32 21, v1
	s_cbranch_execz .LBB2_24
; %bb.19:                               ;   in Loop: Header=BB2_3 Depth=1
	s_mov_b32 s9, exec_lo
	s_mov_b32 s8, exec_lo
	v_mbcnt_lo_u32_b32 v24, s9, 0
                                        ; implicit-def: $vgpr10_vgpr11
	s_delay_alu instid0(VALU_DEP_1)
	v_cmpx_eq_u32_e32 0, v24
	s_cbranch_execz .LBB2_21
; %bb.20:                               ;   in Loop: Header=BB2_3 Depth=1
	s_bcnt1_i32_b32 s9, s9
	s_delay_alu instid0(SALU_CYCLE_1)
	v_mov_b32_e32 v1, s9
	global_atomic_add_u64 v[10:11], v2, v[1:2], s[2:3] glc
.LBB2_21:                               ;   in Loop: Header=BB2_3 Depth=1
	s_or_b32 exec_lo, exec_lo, s8
	s_waitcnt vmcnt(0)
	v_readfirstlane_b32 s8, v10
	v_readfirstlane_b32 s9, v11
	s_delay_alu instid0(VALU_DEP_2) | instskip(NEXT) | instid1(VALU_DEP_1)
	v_add_co_u32 v10, s8, s8, v24
	v_add_co_ci_u32_e64 v11, null, s9, 0, s8
	s_mov_b32 s8, exec_lo
	s_delay_alu instid0(VALU_DEP_1)
	v_cmpx_gt_i64_e32 0x5f5e100, v[10:11]
	s_cbranch_execz .LBB2_23
; %bb.22:                               ;   in Loop: Header=BB2_3 Depth=1
	ds_load_b128 v[24:27], v14
	v_lshlrev_b64 v[10:11], 4, v[10:11]
	s_delay_alu instid0(VALU_DEP_1) | instskip(NEXT) | instid1(VALU_DEP_2)
	v_add_co_u32 v10, vcc_lo, s5, v10
	v_add_co_ci_u32_e32 v11, vcc_lo, s6, v11, vcc_lo
	s_waitcnt lgkmcnt(0)
	global_store_b128 v[10:11], v[24:27], off
.LBB2_23:                               ;   in Loop: Header=BB2_3 Depth=1
	s_or_b32 exec_lo, exec_lo, s8
	s_delay_alu instid0(SALU_CYCLE_1)
	s_xor_b32 s8, exec_lo, -1
.LBB2_24:                               ;   in Loop: Header=BB2_3 Depth=1
	s_or_b32 exec_lo, exec_lo, s1
	s_delay_alu instid0(SALU_CYCLE_1)
	s_and_b32 s1, s8, exec_lo
                                        ; implicit-def: $vgpr1
	s_and_not1_saveexec_b32 s8, s0
	s_cbranch_execz .LBB2_17
.LBB2_25:                               ;   in Loop: Header=BB2_3 Depth=1
	s_mov_b32 s0, -1
	s_mov_b32 s9, exec_lo
	v_cmpx_eq_u16_e32 5, v1
	s_cbranch_execz .LBB2_27
; %bb.26:                               ;   in Loop: Header=BB2_3 Depth=1
	s_add_u32 s0, 0x3c3dd, s7
	s_addc_u32 s11, 0, 0
	v_add_co_u32 v11, s0, 0xf0000000, s0
	s_delay_alu instid0(VALU_DEP_1) | instskip(SKIP_2) | instid1(VALU_DEP_3)
	s_cmp_lg_u32 s0, 0
	v_ashrrev_i32_e32 v10, 31, v9
	v_sub_co_u32 v1, vcc_lo, v5, v3
	v_readfirstlane_b32 s10, v11
	s_addc_u32 s0, s11, 0x4000f
	v_sub_co_ci_u32_e32 v26, vcc_lo, v6, v4, vcc_lo
	s_mul_i32 s12, s0, 0xffffc001
	s_delay_alu instid0(VALU_DEP_2) | instskip(SKIP_2) | instid1(SALU_CYCLE_1)
	s_mul_hi_u32 s11, s10, 0xffffc001
	v_mad_u64_u32 v[24:25], null, 0x1ffff, v1, v[9:10]
	s_sub_i32 s11, s11, s10
	s_add_i32 s11, s11, s12
	s_mul_i32 s12, s10, 0xffffc001
	s_mul_i32 s13, s10, s11
	s_mul_hi_u32 s14, s10, s12
	s_mul_hi_u32 s10, s10, s11
	s_add_u32 s13, s14, s13
	s_mul_i32 s15, s0, s12
	s_addc_u32 s10, 0, s10
	s_mul_hi_u32 s12, s0, s12
	s_mul_hi_u32 s14, s0, s11
	s_add_u32 s13, s13, s15
	s_addc_u32 s10, s10, s12
	s_mul_i32 s11, s0, s11
	s_addc_u32 s12, s14, 0
	v_mov_b32_e32 v1, v25
	s_add_u32 s10, s10, s11
	s_addc_u32 s11, 0, s12
	v_add_co_u32 v29, s10, v11, s10
	s_delay_alu instid0(VALU_DEP_1) | instskip(SKIP_2) | instid1(VALU_DEP_2)
	s_cmp_lg_u32 s10, 0
	v_mad_u64_u32 v[10:11], null, 0x1ffff, v26, v[1:2]
	s_addc_u32 s0, s0, s11
	v_mul_hi_u32 v1, v24, v29
	v_mad_u64_u32 v[25:26], null, v24, s0, 0
	s_delay_alu instid0(VALU_DEP_3) | instskip(NEXT) | instid1(VALU_DEP_2)
	v_mad_u64_u32 v[27:28], null, v10, v29, 0
	v_add_co_u32 v1, vcc_lo, v1, v25
	s_delay_alu instid0(VALU_DEP_3) | instskip(SKIP_1) | instid1(VALU_DEP_3)
	v_add_co_ci_u32_e32 v11, vcc_lo, 0, v26, vcc_lo
	v_mad_u64_u32 v[25:26], null, v10, s0, 0
	v_add_co_u32 v1, vcc_lo, v1, v27
	s_delay_alu instid0(VALU_DEP_3) | instskip(NEXT) | instid1(VALU_DEP_3)
	v_add_co_ci_u32_e32 v1, vcc_lo, v11, v28, vcc_lo
	v_add_co_ci_u32_e32 v11, vcc_lo, 0, v26, vcc_lo
	s_delay_alu instid0(VALU_DEP_2) | instskip(NEXT) | instid1(VALU_DEP_2)
	v_add_co_u32 v1, vcc_lo, v1, v25
	v_add_co_ci_u32_e32 v11, vcc_lo, 0, v11, vcc_lo
	s_delay_alu instid0(VALU_DEP_2) | instskip(NEXT) | instid1(VALU_DEP_1)
	v_mad_u64_u32 v[25:26], null, 0x3fff, v1, 0
	v_mov_b32_e32 v1, v26
	s_delay_alu instid0(VALU_DEP_1) | instskip(NEXT) | instid1(VALU_DEP_3)
	v_mad_u64_u32 v[26:27], null, 0x3fff, v11, v[1:2]
	v_sub_co_u32 v1, vcc_lo, v24, v25
	s_delay_alu instid0(VALU_DEP_2) | instskip(NEXT) | instid1(VALU_DEP_2)
	v_sub_co_ci_u32_e32 v10, vcc_lo, v10, v26, vcc_lo
	v_subrev_co_u32 v11, vcc_lo, 0x3fff, v1
	s_delay_alu instid0(VALU_DEP_2) | instskip(NEXT) | instid1(VALU_DEP_2)
	v_subrev_co_ci_u32_e32 v24, vcc_lo, 0, v10, vcc_lo
	v_cmp_lt_u32_e32 vcc_lo, 0x3ffe, v11
	v_cmp_eq_u32_e64 s0, 0, v10
	v_cndmask_b32_e64 v25, 0, -1, vcc_lo
	v_cmp_lt_u32_e32 vcc_lo, 0x3ffe, v1
	v_cndmask_b32_e64 v26, 0, -1, vcc_lo
	v_cmp_eq_u32_e32 vcc_lo, 0, v24
	s_delay_alu instid0(VALU_DEP_4) | instskip(SKIP_2) | instid1(VALU_DEP_3)
	v_cndmask_b32_e32 v25, -1, v25, vcc_lo
	v_subrev_co_u32 v27, vcc_lo, 0x3fff, v11
	v_subrev_co_ci_u32_e32 v28, vcc_lo, 0, v24, vcc_lo
	v_cmp_ne_u32_e32 vcc_lo, 0, v25
	v_cndmask_b32_e64 v25, -1, v26, s0
	s_delay_alu instid0(VALU_DEP_3) | instskip(SKIP_1) | instid1(VALU_DEP_3)
	v_cndmask_b32_e32 v24, v24, v28, vcc_lo
	v_cndmask_b32_e32 v26, v11, v27, vcc_lo
	v_cmp_ne_u32_e32 vcc_lo, 0, v25
	s_delay_alu instid0(VALU_DEP_2) | instskip(NEXT) | instid1(VALU_DEP_1)
	v_dual_cndmask_b32 v11, v10, v24 :: v_dual_cndmask_b32 v10, v1, v26
	v_cmp_eq_u64_e32 vcc_lo, v[10:11], v[7:8]
	s_or_not1_b32 s0, vcc_lo, exec_lo
.LBB2_27:                               ;   in Loop: Header=BB2_3 Depth=1
	s_or_b32 exec_lo, exec_lo, s9
	s_delay_alu instid0(SALU_CYCLE_1) | instskip(SKIP_1) | instid1(SALU_CYCLE_1)
	s_and_not1_b32 s1, s1, exec_lo
	s_and_b32 s0, s0, exec_lo
	s_or_b32 s1, s1, s0
	s_or_b32 exec_lo, exec_lo, s8
	s_and_saveexec_b32 s8, s1
	s_cbranch_execz .LBB2_2
.LBB2_28:                               ;   in Loop: Header=BB2_3 Depth=1
	v_add_nc_u16 v1, v23, 1
	v_sub_nc_u16 v10, v23, 22
	s_mov_b32 s9, exec_lo
	s_delay_alu instid0(VALU_DEP_2) | instskip(NEXT) | instid1(VALU_DEP_1)
	v_bfe_i32 v1, v1, 0, 8
	v_cmp_gt_i16_e32 vcc_lo, 12, v1
	v_cmpx_ne_u64_e32 0, v[3:4]
	s_cbranch_execz .LBB2_34
; %bb.29:                               ;   in Loop: Header=BB2_3 Depth=1
	v_ctz_i32_b32_e32 v4, v4
	v_ctz_i32_b32_e32 v3, v3
	s_mov_b32 s10, exec_lo
	s_delay_alu instid0(VALU_DEP_2) | instskip(NEXT) | instid1(VALU_DEP_1)
	v_add_nc_u32_e32 v4, 32, v4
	v_min_u32_e32 v3, v3, v4
	s_delay_alu instid0(VALU_DEP_1) | instskip(NEXT) | instid1(VALU_DEP_1)
	v_add_nc_u16 v3, v10, v3
	v_and_b32_e32 v4, 0xff, v3
	s_delay_alu instid0(VALU_DEP_1)
	v_cmpx_gt_u16_e32 11, v4
	s_cbranch_execz .LBB2_33
; %bb.30:                               ;   in Loop: Header=BB2_3 Depth=1
	v_lshrrev_b32_e32 v11, v3, v9
	v_cmp_ne_u16_e64 s0, 0, v4
	s_delay_alu instid0(VALU_DEP_2) | instskip(NEXT) | instid1(VALU_DEP_2)
	v_and_b32_e32 v11, 1, v11
	s_or_b32 s0, vcc_lo, s0
	s_delay_alu instid0(VALU_DEP_1) | instskip(NEXT) | instid1(VALU_DEP_1)
	v_cmp_eq_u32_e64 s1, 1, v11
	s_and_b32 s1, s0, s1
	s_delay_alu instid0(SALU_CYCLE_1)
	s_and_saveexec_b32 s0, s1
	s_cbranch_execz .LBB2_32
; %bb.31:                               ;   in Loop: Header=BB2_3 Depth=1
	v_mov_b32_e32 v16, v18
	ds_store_b8 v19, v1
	ds_store_b8 v21, v3
	;; [unrolled: 1-line block ×4, first 2 shown]
.LBB2_32:                               ;   in Loop: Header=BB2_3 Depth=1
	s_or_b32 exec_lo, exec_lo, s0
.LBB2_33:                               ;   in Loop: Header=BB2_3 Depth=1
	s_delay_alu instid0(SALU_CYCLE_1)
	s_or_b32 exec_lo, exec_lo, s10
.LBB2_34:                               ;   in Loop: Header=BB2_3 Depth=1
	s_delay_alu instid0(SALU_CYCLE_1) | instskip(NEXT) | instid1(SALU_CYCLE_1)
	s_or_b32 exec_lo, exec_lo, s9
	s_mov_b32 s9, exec_lo
	v_cmpx_ne_u64_e32 0, v[5:6]
	s_cbranch_execz .LBB2_40
; %bb.35:                               ;   in Loop: Header=BB2_3 Depth=1
	v_ctz_i32_b32_e32 v3, v6
	v_ctz_i32_b32_e32 v4, v5
	s_mov_b32 s10, exec_lo
	s_delay_alu instid0(VALU_DEP_2) | instskip(NEXT) | instid1(VALU_DEP_1)
	v_add_nc_u32_e32 v3, 32, v3
	v_min_u32_e32 v3, v4, v3
	s_delay_alu instid0(VALU_DEP_1) | instskip(NEXT) | instid1(VALU_DEP_1)
	v_add_nc_u16 v3, v10, v3
	v_and_b32_e32 v4, 0xff, v3
	s_delay_alu instid0(VALU_DEP_1)
	v_cmpx_gt_u16_e32 11, v4
	s_cbranch_execz .LBB2_39
; %bb.36:                               ;   in Loop: Header=BB2_3 Depth=1
	v_lshrrev_b32_e32 v5, v3, v9
	v_cmp_ne_u16_e64 s0, 0, v4
	s_delay_alu instid0(VALU_DEP_2) | instskip(NEXT) | instid1(VALU_DEP_2)
	v_and_b32_e32 v5, 1, v5
	s_or_b32 s0, vcc_lo, s0
	s_delay_alu instid0(VALU_DEP_1) | instskip(NEXT) | instid1(VALU_DEP_1)
	v_cmp_eq_u32_e64 s1, 1, v5
	s_and_b32 s1, s0, s1
	s_delay_alu instid0(SALU_CYCLE_1)
	s_and_saveexec_b32 s0, s1
	s_cbranch_execz .LBB2_38
; %bb.37:                               ;   in Loop: Header=BB2_3 Depth=1
	v_mad_u32_u24 v4, 0x108, v0, v16
	v_add_nc_u32_e32 v16, 4, v16
	ds_store_b8 v4, v1 offset:1472
	ds_store_b8 v4, v3 offset:1473
	;; [unrolled: 1-line block ×4, first 2 shown]
.LBB2_38:                               ;   in Loop: Header=BB2_3 Depth=1
	s_or_b32 exec_lo, exec_lo, s0
.LBB2_39:                               ;   in Loop: Header=BB2_3 Depth=1
	s_delay_alu instid0(SALU_CYCLE_1)
	s_or_b32 exec_lo, exec_lo, s10
.LBB2_40:                               ;   in Loop: Header=BB2_3 Depth=1
	s_delay_alu instid0(SALU_CYCLE_1) | instskip(SKIP_2) | instid1(VALU_DEP_1)
	s_or_b32 exec_lo, exec_lo, s9
	v_bfe_i32 v3, v17, 0, 8
	s_mov_b32 s0, exec_lo
	v_cmpx_gt_i16_e32 11, v3
	s_cbranch_execz .LBB2_1
; %bb.41:                               ;   in Loop: Header=BB2_3 Depth=1
	v_lshlrev_b16 v3, 8, v17
	v_or_b32_e32 v1, 0xffffff00, v1
	v_mad_u32_u24 v5, 0x108, v0, v16
	v_add_nc_u32_e32 v16, 8, v16
	s_delay_alu instid0(VALU_DEP_4) | instskip(NEXT) | instid1(VALU_DEP_4)
	v_or_b32_e32 v3, 1, v3
	v_and_b32_e32 v1, 0xffff, v1
	s_delay_alu instid0(VALU_DEP_2) | instskip(NEXT) | instid1(VALU_DEP_2)
	v_lshlrev_b32_e32 v3, 16, v3
	v_lshl_or_b32 v4, v17, 24, v1
	s_delay_alu instid0(VALU_DEP_2)
	v_or_b32_e32 v3, v1, v3
	ds_store_b64 v5, v[3:4] offset:1472
	s_branch .LBB2_1
.LBB2_42:
	s_nop 0
	s_sendmsg sendmsg(MSG_DEALLOC_VGPRS)
	s_endpgm
	.section	.rodata,"a",@progbits
	.p2align	6, 0x0
	.amdhsa_kernel _Z7dfs_gpuILi11EEvPl
		.amdhsa_group_segment_fixed_size 2960
		.amdhsa_private_segment_fixed_size 0
		.amdhsa_kernarg_size 8
		.amdhsa_user_sgpr_count 15
		.amdhsa_user_sgpr_dispatch_ptr 0
		.amdhsa_user_sgpr_queue_ptr 0
		.amdhsa_user_sgpr_kernarg_segment_ptr 1
		.amdhsa_user_sgpr_dispatch_id 0
		.amdhsa_user_sgpr_private_segment_size 0
		.amdhsa_wavefront_size32 1
		.amdhsa_uses_dynamic_stack 0
		.amdhsa_enable_private_segment 0
		.amdhsa_system_sgpr_workgroup_id_x 1
		.amdhsa_system_sgpr_workgroup_id_y 0
		.amdhsa_system_sgpr_workgroup_id_z 0
		.amdhsa_system_sgpr_workgroup_info 0
		.amdhsa_system_vgpr_workitem_id 0
		.amdhsa_next_free_vgpr 30
		.amdhsa_next_free_sgpr 16
		.amdhsa_reserve_vcc 1
		.amdhsa_float_round_mode_32 0
		.amdhsa_float_round_mode_16_64 0
		.amdhsa_float_denorm_mode_32 3
		.amdhsa_float_denorm_mode_16_64 3
		.amdhsa_dx10_clamp 1
		.amdhsa_ieee_mode 1
		.amdhsa_fp16_overflow 0
		.amdhsa_workgroup_processor_mode 1
		.amdhsa_memory_ordered 1
		.amdhsa_forward_progress 0
		.amdhsa_shared_vgpr_count 0
		.amdhsa_exception_fp_ieee_invalid_op 0
		.amdhsa_exception_fp_denorm_src 0
		.amdhsa_exception_fp_ieee_div_zero 0
		.amdhsa_exception_fp_ieee_overflow 0
		.amdhsa_exception_fp_ieee_underflow 0
		.amdhsa_exception_fp_ieee_inexact 0
		.amdhsa_exception_int_div_zero 0
	.end_amdhsa_kernel
	.section	.text._Z7dfs_gpuILi11EEvPl,"axG",@progbits,_Z7dfs_gpuILi11EEvPl,comdat
.Lfunc_end2:
	.size	_Z7dfs_gpuILi11EEvPl, .Lfunc_end2-_Z7dfs_gpuILi11EEvPl
                                        ; -- End function
	.section	.AMDGPU.csdata,"",@progbits
; Kernel info:
; codeLenInByte = 1968
; NumSgprs: 18
; NumVgprs: 30
; ScratchSize: 0
; MemoryBound: 0
; FloatMode: 240
; IeeeMode: 1
; LDSByteSize: 2960 bytes/workgroup (compile time only)
; SGPRBlocks: 2
; VGPRBlocks: 3
; NumSGPRsForWavesPerEU: 18
; NumVGPRsForWavesPerEU: 30
; Occupancy: 16
; WaveLimiterHint : 0
; COMPUTE_PGM_RSRC2:SCRATCH_EN: 0
; COMPUTE_PGM_RSRC2:USER_SGPR: 15
; COMPUTE_PGM_RSRC2:TRAP_HANDLER: 0
; COMPUTE_PGM_RSRC2:TGID_X_EN: 1
; COMPUTE_PGM_RSRC2:TGID_Y_EN: 0
; COMPUTE_PGM_RSRC2:TGID_Z_EN: 0
; COMPUTE_PGM_RSRC2:TIDIG_COMP_CNT: 0
	.section	.text._Z7dfs_gpuILi12EEvPl,"axG",@progbits,_Z7dfs_gpuILi12EEvPl,comdat
	.protected	_Z7dfs_gpuILi12EEvPl    ; -- Begin function _Z7dfs_gpuILi12EEvPl
	.globl	_Z7dfs_gpuILi12EEvPl
	.p2align	8
	.type	_Z7dfs_gpuILi12EEvPl,@function
_Z7dfs_gpuILi12EEvPl:                   ; @_Z7dfs_gpuILi12EEvPl
; %bb.0:
	s_load_b64 s[2:3], s[0:1], 0x0
	v_dual_mov_b32 v5, 0xfff :: v_dual_mov_b32 v2, 0
	v_lshl_add_u32 v7, s15, 2, v0
	s_movk_i32 s0, 0x640
	v_mov_b32_e32 v6, 0xff00
	s_delay_alu instid0(VALU_DEP_3)
	v_dual_mov_b32 v18, 4 :: v_dual_mov_b32 v3, v2
	v_mov_b32_e32 v12, 1
	v_mul_u32_u24_e32 v13, 0x190, v0
	v_mov_b32_e32 v1, v2
	v_mov_b32_e32 v4, v2
	v_mul_u32_u24_e32 v9, 0x64, v0
	v_lshl_add_u32 v14, v0, 4, 0xc50
	v_mad_u32_u24 v15, 0x120, v0, s0
	v_ashrrev_i32_e32 v8, 31, v7
	v_mul_u32_u24_e32 v10, 0x120, v0
	s_mov_b32 s4, 0
	s_mov_b32 s7, 0x103c3ce1
	ds_store_b128 v13, v[1:4]
	s_waitcnt lgkmcnt(0)
	s_add_u32 s5, s2, 8
	s_addc_u32 s6, s3, 0
	ds_store_b32 v9, v5 offset:2752
	ds_store_b32 v10, v6 offset:1600
	s_branch .LBB3_3
.LBB3_1:                                ;   in Loop: Header=BB3_3 Depth=1
	s_or_b32 exec_lo, exec_lo, s0
.LBB3_2:                                ;   in Loop: Header=BB3_3 Depth=1
	s_delay_alu instid0(SALU_CYCLE_1) | instskip(SKIP_3) | instid1(SALU_CYCLE_1)
	s_or_b32 exec_lo, exec_lo, s8
	v_cmp_eq_u32_e32 vcc_lo, 0, v16
	v_mov_b32_e32 v18, v16
	s_or_b32 s4, vcc_lo, s4
	s_and_not1_b32 exec_lo, exec_lo, s4
	s_cbranch_execz .LBB3_42
.LBB3_3:                                ; =>This Inner Loop Header: Depth=1
	s_delay_alu instid0(VALU_DEP_1) | instskip(SKIP_2) | instid1(VALU_DEP_2)
	v_add_nc_u32_e32 v16, -4, v18
	v_add_nc_u32_e32 v1, v18, v15
	s_mov_b32 s1, exec_lo
	v_add_nc_u32_e32 v19, v15, v16
	s_delay_alu instid0(VALU_DEP_2)
	v_add_nc_u32_e32 v20, -2, v1
	v_add_nc_u32_e32 v21, -3, v1
	;; [unrolled: 1-line block ×3, first 2 shown]
	ds_load_u8 v23, v19
	ds_load_u8 v25, v20
	ds_load_i8 v11, v21
	s_waitcnt lgkmcnt(2)
	v_bfe_i32 v24, v23, 0, 8
	s_waitcnt lgkmcnt(0)
	v_cmp_gt_i16_e32 vcc_lo, 0, v11
	s_delay_alu instid0(VALU_DEP_2) | instskip(SKIP_1) | instid1(VALU_DEP_2)
	v_lshlrev_b32_e32 v3, 4, v24
	v_lshlrev_b32_e32 v4, 2, v24
	v_add_nc_u32_e32 v10, v13, v3
	s_delay_alu instid0(VALU_DEP_2)
	v_mad_u32_u24 v1, 0x64, v0, v4
	ds_load_u8 v17, v22
	ds_load_b128 v[3:6], v10
	ds_load_b32 v9, v1 offset:2752
	s_waitcnt lgkmcnt(1)
	ds_store_b128 v10, v[3:6] offset:16
	v_cmpx_ne_u16_e32 0, v25
	s_xor_b32 s1, exec_lo, s1
	s_cbranch_execz .LBB3_9
; %bb.4:                                ;   in Loop: Header=BB3_3 Depth=1
	s_and_saveexec_b32 s0, vcc_lo
	s_delay_alu instid0(SALU_CYCLE_1)
	s_xor_b32 s0, exec_lo, s0
	s_cbranch_execz .LBB3_6
; %bb.5:                                ;   in Loop: Header=BB3_3 Depth=1
	v_lshrrev_b64 v[24:25], v24, 0x800000
	v_add_nc_u16 v17, v17, 1
                                        ; implicit-def: $vgpr11
	s_delay_alu instid0(VALU_DEP_2) | instskip(NEXT) | instid1(VALU_DEP_3)
	v_or_b32_e32 v6, v6, v25
	v_or_b32_e32 v5, v5, v24
	ds_store_b64 v10, v[5:6] offset:24
                                        ; implicit-def: $vgpr10
.LBB3_6:                                ;   in Loop: Header=BB3_3 Depth=1
	s_and_not1_saveexec_b32 s8, s0
	s_cbranch_execz .LBB3_8
; %bb.7:                                ;   in Loop: Header=BB3_3 Depth=1
	v_bfe_i32 v11, v11, 0, 16
	v_add_co_u32 v24, s0, v5, -1
	s_delay_alu instid0(VALU_DEP_1) | instskip(NEXT) | instid1(VALU_DEP_3)
	v_add_co_ci_u32_e64 v25, s0, -1, v6, s0
	v_lshlrev_b32_e64 v26, v11, 1
	v_add_nc_u32_e32 v11, v14, v11
	s_delay_alu instid0(VALU_DEP_4) | instskip(NEXT) | instid1(VALU_DEP_4)
	v_and_b32_e32 v5, v24, v5
	v_and_b32_e32 v6, v25, v6
	ds_store_b8 v11, v23
	ds_store_b64 v10, v[5:6] offset:24
	s_waitcnt lgkmcnt(3)
	v_xor_b32_e32 v9, v9, v26
.LBB3_8:                                ;   in Loop: Header=BB3_3 Depth=1
	s_or_b32 exec_lo, exec_lo, s8
                                        ; implicit-def: $vgpr11
                                        ; implicit-def: $vgpr10
                                        ; implicit-def: $vgpr24
.LBB3_9:                                ;   in Loop: Header=BB3_3 Depth=1
	s_and_not1_saveexec_b32 s0, s1
	s_cbranch_execz .LBB3_15
; %bb.10:                               ;   in Loop: Header=BB3_3 Depth=1
	s_and_saveexec_b32 s1, vcc_lo
	s_delay_alu instid0(SALU_CYCLE_1)
	s_xor_b32 s1, exec_lo, s1
	s_cbranch_execz .LBB3_12
; %bb.11:                               ;   in Loop: Header=BB3_3 Depth=1
	v_lshrrev_b64 v[24:25], v24, 0x800000
	v_add_nc_u16 v17, v17, 1
                                        ; implicit-def: $vgpr11
	s_delay_alu instid0(VALU_DEP_2) | instskip(NEXT) | instid1(VALU_DEP_3)
	v_or_b32_e32 v4, v25, v4
	v_or_b32_e32 v3, v24, v3
	ds_store_b64 v10, v[3:4] offset:16
                                        ; implicit-def: $vgpr10
.LBB3_12:                               ;   in Loop: Header=BB3_3 Depth=1
	s_and_not1_saveexec_b32 s1, s1
	s_cbranch_execz .LBB3_14
; %bb.13:                               ;   in Loop: Header=BB3_3 Depth=1
	v_bfe_i32 v11, v11, 0, 16
	v_add_co_u32 v24, vcc_lo, v3, -1
	v_add_co_ci_u32_e32 v25, vcc_lo, -1, v4, vcc_lo
	s_delay_alu instid0(VALU_DEP_3) | instskip(SKIP_1) | instid1(VALU_DEP_4)
	v_lshlrev_b32_e64 v26, v11, 1
	v_add_nc_u32_e32 v11, v14, v11
	v_and_b32_e32 v3, v24, v3
	s_delay_alu instid0(VALU_DEP_4)
	v_and_b32_e32 v4, v25, v4
	ds_store_b8 v11, v23
	ds_store_b64 v10, v[3:4] offset:16
	s_waitcnt lgkmcnt(3)
	v_xor_b32_e32 v9, v9, v26
.LBB3_14:                               ;   in Loop: Header=BB3_3 Depth=1
	s_or_b32 exec_lo, exec_lo, s1
.LBB3_15:                               ;   in Loop: Header=BB3_3 Depth=1
	s_delay_alu instid0(SALU_CYCLE_1)
	s_or_b32 exec_lo, exec_lo, s0
	v_add_nc_u32_e32 v1, 0xac0, v1
	s_mov_b32 s1, 0
	s_mov_b32 s0, exec_lo
	s_waitcnt lgkmcnt(1)
	ds_store_b32 v1, v9 offset:4
	v_and_b32_e32 v1, 0xff, v23
	s_delay_alu instid0(VALU_DEP_1)
	v_cmpx_lt_i16_e32 22, v1
	s_xor_b32 s0, exec_lo, s0
	s_cbranch_execnz .LBB3_18
; %bb.16:                               ;   in Loop: Header=BB3_3 Depth=1
	s_and_not1_saveexec_b32 s8, s0
	s_cbranch_execnz .LBB3_25
.LBB3_17:                               ;   in Loop: Header=BB3_3 Depth=1
	s_or_b32 exec_lo, exec_lo, s8
	s_and_saveexec_b32 s8, s1
	s_cbranch_execz .LBB3_2
	s_branch .LBB3_28
.LBB3_18:                               ;   in Loop: Header=BB3_3 Depth=1
	s_mov_b32 s8, -1
	s_mov_b32 s1, exec_lo
	v_cmpx_eq_u16_e32 23, v1
	s_cbranch_execz .LBB3_24
; %bb.19:                               ;   in Loop: Header=BB3_3 Depth=1
	s_mov_b32 s9, exec_lo
	s_mov_b32 s8, exec_lo
	v_mbcnt_lo_u32_b32 v24, s9, 0
                                        ; implicit-def: $vgpr10_vgpr11
	s_delay_alu instid0(VALU_DEP_1)
	v_cmpx_eq_u32_e32 0, v24
	s_cbranch_execz .LBB3_21
; %bb.20:                               ;   in Loop: Header=BB3_3 Depth=1
	s_bcnt1_i32_b32 s9, s9
	s_delay_alu instid0(SALU_CYCLE_1)
	v_mov_b32_e32 v1, s9
	global_atomic_add_u64 v[10:11], v2, v[1:2], s[2:3] glc
.LBB3_21:                               ;   in Loop: Header=BB3_3 Depth=1
	s_or_b32 exec_lo, exec_lo, s8
	s_waitcnt vmcnt(0)
	v_readfirstlane_b32 s8, v10
	v_readfirstlane_b32 s9, v11
	s_delay_alu instid0(VALU_DEP_2) | instskip(NEXT) | instid1(VALU_DEP_1)
	v_add_co_u32 v10, s8, s8, v24
	v_add_co_ci_u32_e64 v11, null, s9, 0, s8
	s_mov_b32 s8, exec_lo
	s_delay_alu instid0(VALU_DEP_1)
	v_cmpx_gt_i64_e32 0x5f5e100, v[10:11]
	s_cbranch_execz .LBB3_23
; %bb.22:                               ;   in Loop: Header=BB3_3 Depth=1
	ds_load_b128 v[24:27], v14
	v_lshlrev_b64 v[10:11], 4, v[10:11]
	s_delay_alu instid0(VALU_DEP_1) | instskip(NEXT) | instid1(VALU_DEP_2)
	v_add_co_u32 v10, vcc_lo, s5, v10
	v_add_co_ci_u32_e32 v11, vcc_lo, s6, v11, vcc_lo
	s_waitcnt lgkmcnt(0)
	global_store_b128 v[10:11], v[24:27], off
.LBB3_23:                               ;   in Loop: Header=BB3_3 Depth=1
	s_or_b32 exec_lo, exec_lo, s8
	s_delay_alu instid0(SALU_CYCLE_1)
	s_xor_b32 s8, exec_lo, -1
.LBB3_24:                               ;   in Loop: Header=BB3_3 Depth=1
	s_or_b32 exec_lo, exec_lo, s1
	s_delay_alu instid0(SALU_CYCLE_1)
	s_and_b32 s1, s8, exec_lo
                                        ; implicit-def: $vgpr1
	s_and_not1_saveexec_b32 s8, s0
	s_cbranch_execz .LBB3_17
.LBB3_25:                               ;   in Loop: Header=BB3_3 Depth=1
	s_mov_b32 s0, -1
	s_mov_b32 s9, exec_lo
	v_cmpx_eq_u16_e32 6, v1
	s_cbranch_execz .LBB3_27
; %bb.26:                               ;   in Loop: Header=BB3_3 Depth=1
	s_add_u32 s0, 0x3c3dd, s7
	s_addc_u32 s11, 0, 0
	v_add_co_u32 v11, s0, 0xf0000000, s0
	s_delay_alu instid0(VALU_DEP_1) | instskip(SKIP_2) | instid1(VALU_DEP_3)
	s_cmp_lg_u32 s0, 0
	v_ashrrev_i32_e32 v10, 31, v9
	v_sub_co_u32 v1, vcc_lo, v5, v3
	v_readfirstlane_b32 s10, v11
	s_addc_u32 s0, s11, 0x4000f
	v_sub_co_ci_u32_e32 v26, vcc_lo, v6, v4, vcc_lo
	s_mul_i32 s12, s0, 0xffffc001
	s_delay_alu instid0(VALU_DEP_2) | instskip(SKIP_2) | instid1(SALU_CYCLE_1)
	s_mul_hi_u32 s11, s10, 0xffffc001
	v_mad_u64_u32 v[24:25], null, 0x1ffff, v1, v[9:10]
	s_sub_i32 s11, s11, s10
	s_add_i32 s11, s11, s12
	s_mul_i32 s12, s10, 0xffffc001
	s_mul_i32 s13, s10, s11
	s_mul_hi_u32 s14, s10, s12
	s_mul_hi_u32 s10, s10, s11
	s_add_u32 s13, s14, s13
	s_mul_i32 s15, s0, s12
	s_addc_u32 s10, 0, s10
	s_mul_hi_u32 s12, s0, s12
	s_mul_hi_u32 s14, s0, s11
	s_add_u32 s13, s13, s15
	s_addc_u32 s10, s10, s12
	s_mul_i32 s11, s0, s11
	s_addc_u32 s12, s14, 0
	v_mov_b32_e32 v1, v25
	s_add_u32 s10, s10, s11
	s_addc_u32 s11, 0, s12
	v_add_co_u32 v29, s10, v11, s10
	s_delay_alu instid0(VALU_DEP_1) | instskip(SKIP_2) | instid1(VALU_DEP_2)
	s_cmp_lg_u32 s10, 0
	v_mad_u64_u32 v[10:11], null, 0x1ffff, v26, v[1:2]
	s_addc_u32 s0, s0, s11
	v_mul_hi_u32 v1, v24, v29
	v_mad_u64_u32 v[25:26], null, v24, s0, 0
	s_delay_alu instid0(VALU_DEP_3) | instskip(NEXT) | instid1(VALU_DEP_2)
	v_mad_u64_u32 v[27:28], null, v10, v29, 0
	v_add_co_u32 v1, vcc_lo, v1, v25
	s_delay_alu instid0(VALU_DEP_3) | instskip(SKIP_1) | instid1(VALU_DEP_3)
	v_add_co_ci_u32_e32 v11, vcc_lo, 0, v26, vcc_lo
	v_mad_u64_u32 v[25:26], null, v10, s0, 0
	v_add_co_u32 v1, vcc_lo, v1, v27
	s_delay_alu instid0(VALU_DEP_3) | instskip(NEXT) | instid1(VALU_DEP_3)
	v_add_co_ci_u32_e32 v1, vcc_lo, v11, v28, vcc_lo
	v_add_co_ci_u32_e32 v11, vcc_lo, 0, v26, vcc_lo
	s_delay_alu instid0(VALU_DEP_2) | instskip(NEXT) | instid1(VALU_DEP_2)
	v_add_co_u32 v1, vcc_lo, v1, v25
	v_add_co_ci_u32_e32 v11, vcc_lo, 0, v11, vcc_lo
	s_delay_alu instid0(VALU_DEP_2) | instskip(NEXT) | instid1(VALU_DEP_1)
	v_mad_u64_u32 v[25:26], null, 0x3fff, v1, 0
	v_mov_b32_e32 v1, v26
	s_delay_alu instid0(VALU_DEP_1) | instskip(NEXT) | instid1(VALU_DEP_3)
	v_mad_u64_u32 v[26:27], null, 0x3fff, v11, v[1:2]
	v_sub_co_u32 v1, vcc_lo, v24, v25
	s_delay_alu instid0(VALU_DEP_2) | instskip(NEXT) | instid1(VALU_DEP_2)
	v_sub_co_ci_u32_e32 v10, vcc_lo, v10, v26, vcc_lo
	v_subrev_co_u32 v11, vcc_lo, 0x3fff, v1
	s_delay_alu instid0(VALU_DEP_2) | instskip(NEXT) | instid1(VALU_DEP_2)
	v_subrev_co_ci_u32_e32 v24, vcc_lo, 0, v10, vcc_lo
	v_cmp_lt_u32_e32 vcc_lo, 0x3ffe, v11
	v_cmp_eq_u32_e64 s0, 0, v10
	v_cndmask_b32_e64 v25, 0, -1, vcc_lo
	v_cmp_lt_u32_e32 vcc_lo, 0x3ffe, v1
	v_cndmask_b32_e64 v26, 0, -1, vcc_lo
	v_cmp_eq_u32_e32 vcc_lo, 0, v24
	s_delay_alu instid0(VALU_DEP_4) | instskip(SKIP_2) | instid1(VALU_DEP_3)
	v_cndmask_b32_e32 v25, -1, v25, vcc_lo
	v_subrev_co_u32 v27, vcc_lo, 0x3fff, v11
	v_subrev_co_ci_u32_e32 v28, vcc_lo, 0, v24, vcc_lo
	v_cmp_ne_u32_e32 vcc_lo, 0, v25
	v_cndmask_b32_e64 v25, -1, v26, s0
	s_delay_alu instid0(VALU_DEP_3) | instskip(SKIP_1) | instid1(VALU_DEP_3)
	v_cndmask_b32_e32 v24, v24, v28, vcc_lo
	v_cndmask_b32_e32 v26, v11, v27, vcc_lo
	v_cmp_ne_u32_e32 vcc_lo, 0, v25
	s_delay_alu instid0(VALU_DEP_2) | instskip(NEXT) | instid1(VALU_DEP_1)
	v_dual_cndmask_b32 v11, v10, v24 :: v_dual_cndmask_b32 v10, v1, v26
	v_cmp_eq_u64_e32 vcc_lo, v[10:11], v[7:8]
	s_or_not1_b32 s0, vcc_lo, exec_lo
.LBB3_27:                               ;   in Loop: Header=BB3_3 Depth=1
	s_or_b32 exec_lo, exec_lo, s9
	s_delay_alu instid0(SALU_CYCLE_1) | instskip(SKIP_1) | instid1(SALU_CYCLE_1)
	s_and_not1_b32 s1, s1, exec_lo
	s_and_b32 s0, s0, exec_lo
	s_or_b32 s1, s1, s0
	s_or_b32 exec_lo, exec_lo, s8
	s_and_saveexec_b32 s8, s1
	s_cbranch_execz .LBB3_2
.LBB3_28:                               ;   in Loop: Header=BB3_3 Depth=1
	v_add_nc_u16 v1, v23, 1
	v_sub_nc_u16 v10, v23, 24
	s_mov_b32 s9, exec_lo
	s_delay_alu instid0(VALU_DEP_2) | instskip(NEXT) | instid1(VALU_DEP_1)
	v_bfe_i32 v1, v1, 0, 8
	v_cmp_gt_i16_e32 vcc_lo, 13, v1
	v_cmpx_ne_u64_e32 0, v[3:4]
	s_cbranch_execz .LBB3_34
; %bb.29:                               ;   in Loop: Header=BB3_3 Depth=1
	v_ctz_i32_b32_e32 v4, v4
	v_ctz_i32_b32_e32 v3, v3
	s_mov_b32 s10, exec_lo
	s_delay_alu instid0(VALU_DEP_2) | instskip(NEXT) | instid1(VALU_DEP_1)
	v_add_nc_u32_e32 v4, 32, v4
	v_min_u32_e32 v3, v3, v4
	s_delay_alu instid0(VALU_DEP_1) | instskip(NEXT) | instid1(VALU_DEP_1)
	v_add_nc_u16 v3, v10, v3
	v_and_b32_e32 v4, 0xff, v3
	s_delay_alu instid0(VALU_DEP_1)
	v_cmpx_gt_u16_e32 12, v4
	s_cbranch_execz .LBB3_33
; %bb.30:                               ;   in Loop: Header=BB3_3 Depth=1
	v_lshrrev_b32_e32 v11, v3, v9
	v_cmp_ne_u16_e64 s0, 0, v4
	s_delay_alu instid0(VALU_DEP_2) | instskip(NEXT) | instid1(VALU_DEP_2)
	v_and_b32_e32 v11, 1, v11
	s_or_b32 s0, vcc_lo, s0
	s_delay_alu instid0(VALU_DEP_1) | instskip(NEXT) | instid1(VALU_DEP_1)
	v_cmp_eq_u32_e64 s1, 1, v11
	s_and_b32 s1, s0, s1
	s_delay_alu instid0(SALU_CYCLE_1)
	s_and_saveexec_b32 s0, s1
	s_cbranch_execz .LBB3_32
; %bb.31:                               ;   in Loop: Header=BB3_3 Depth=1
	v_mov_b32_e32 v16, v18
	ds_store_b8 v19, v1
	ds_store_b8 v21, v3
	;; [unrolled: 1-line block ×4, first 2 shown]
.LBB3_32:                               ;   in Loop: Header=BB3_3 Depth=1
	s_or_b32 exec_lo, exec_lo, s0
.LBB3_33:                               ;   in Loop: Header=BB3_3 Depth=1
	s_delay_alu instid0(SALU_CYCLE_1)
	s_or_b32 exec_lo, exec_lo, s10
.LBB3_34:                               ;   in Loop: Header=BB3_3 Depth=1
	s_delay_alu instid0(SALU_CYCLE_1) | instskip(NEXT) | instid1(SALU_CYCLE_1)
	s_or_b32 exec_lo, exec_lo, s9
	s_mov_b32 s9, exec_lo
	v_cmpx_ne_u64_e32 0, v[5:6]
	s_cbranch_execz .LBB3_40
; %bb.35:                               ;   in Loop: Header=BB3_3 Depth=1
	v_ctz_i32_b32_e32 v3, v6
	v_ctz_i32_b32_e32 v4, v5
	s_mov_b32 s10, exec_lo
	s_delay_alu instid0(VALU_DEP_2) | instskip(NEXT) | instid1(VALU_DEP_1)
	v_add_nc_u32_e32 v3, 32, v3
	v_min_u32_e32 v3, v4, v3
	s_delay_alu instid0(VALU_DEP_1) | instskip(NEXT) | instid1(VALU_DEP_1)
	v_add_nc_u16 v3, v10, v3
	v_and_b32_e32 v4, 0xff, v3
	s_delay_alu instid0(VALU_DEP_1)
	v_cmpx_gt_u16_e32 12, v4
	s_cbranch_execz .LBB3_39
; %bb.36:                               ;   in Loop: Header=BB3_3 Depth=1
	v_lshrrev_b32_e32 v5, v3, v9
	v_cmp_ne_u16_e64 s0, 0, v4
	s_delay_alu instid0(VALU_DEP_2) | instskip(NEXT) | instid1(VALU_DEP_2)
	v_and_b32_e32 v5, 1, v5
	s_or_b32 s0, vcc_lo, s0
	s_delay_alu instid0(VALU_DEP_1) | instskip(NEXT) | instid1(VALU_DEP_1)
	v_cmp_eq_u32_e64 s1, 1, v5
	s_and_b32 s1, s0, s1
	s_delay_alu instid0(SALU_CYCLE_1)
	s_and_saveexec_b32 s0, s1
	s_cbranch_execz .LBB3_38
; %bb.37:                               ;   in Loop: Header=BB3_3 Depth=1
	v_mad_u32_u24 v4, 0x120, v0, v16
	v_add_nc_u32_e32 v16, 4, v16
	ds_store_b8 v4, v1 offset:1600
	ds_store_b8 v4, v3 offset:1601
	;; [unrolled: 1-line block ×4, first 2 shown]
.LBB3_38:                               ;   in Loop: Header=BB3_3 Depth=1
	s_or_b32 exec_lo, exec_lo, s0
.LBB3_39:                               ;   in Loop: Header=BB3_3 Depth=1
	s_delay_alu instid0(SALU_CYCLE_1)
	s_or_b32 exec_lo, exec_lo, s10
.LBB3_40:                               ;   in Loop: Header=BB3_3 Depth=1
	s_delay_alu instid0(SALU_CYCLE_1) | instskip(SKIP_2) | instid1(VALU_DEP_1)
	s_or_b32 exec_lo, exec_lo, s9
	v_bfe_i32 v3, v17, 0, 8
	s_mov_b32 s0, exec_lo
	v_cmpx_gt_i16_e32 12, v3
	s_cbranch_execz .LBB3_1
; %bb.41:                               ;   in Loop: Header=BB3_3 Depth=1
	v_lshlrev_b16 v3, 8, v17
	v_or_b32_e32 v1, 0xffffff00, v1
	v_mad_u32_u24 v5, 0x120, v0, v16
	v_add_nc_u32_e32 v16, 8, v16
	s_delay_alu instid0(VALU_DEP_4) | instskip(NEXT) | instid1(VALU_DEP_4)
	v_or_b32_e32 v3, 1, v3
	v_and_b32_e32 v1, 0xffff, v1
	s_delay_alu instid0(VALU_DEP_2) | instskip(NEXT) | instid1(VALU_DEP_2)
	v_lshlrev_b32_e32 v3, 16, v3
	v_lshl_or_b32 v4, v17, 24, v1
	s_delay_alu instid0(VALU_DEP_2)
	v_or_b32_e32 v3, v1, v3
	ds_store_b64 v5, v[3:4] offset:1600
	s_branch .LBB3_1
.LBB3_42:
	s_nop 0
	s_sendmsg sendmsg(MSG_DEALLOC_VGPRS)
	s_endpgm
	.section	.rodata,"a",@progbits
	.p2align	6, 0x0
	.amdhsa_kernel _Z7dfs_gpuILi12EEvPl
		.amdhsa_group_segment_fixed_size 3216
		.amdhsa_private_segment_fixed_size 0
		.amdhsa_kernarg_size 8
		.amdhsa_user_sgpr_count 15
		.amdhsa_user_sgpr_dispatch_ptr 0
		.amdhsa_user_sgpr_queue_ptr 0
		.amdhsa_user_sgpr_kernarg_segment_ptr 1
		.amdhsa_user_sgpr_dispatch_id 0
		.amdhsa_user_sgpr_private_segment_size 0
		.amdhsa_wavefront_size32 1
		.amdhsa_uses_dynamic_stack 0
		.amdhsa_enable_private_segment 0
		.amdhsa_system_sgpr_workgroup_id_x 1
		.amdhsa_system_sgpr_workgroup_id_y 0
		.amdhsa_system_sgpr_workgroup_id_z 0
		.amdhsa_system_sgpr_workgroup_info 0
		.amdhsa_system_vgpr_workitem_id 0
		.amdhsa_next_free_vgpr 30
		.amdhsa_next_free_sgpr 16
		.amdhsa_reserve_vcc 1
		.amdhsa_float_round_mode_32 0
		.amdhsa_float_round_mode_16_64 0
		.amdhsa_float_denorm_mode_32 3
		.amdhsa_float_denorm_mode_16_64 3
		.amdhsa_dx10_clamp 1
		.amdhsa_ieee_mode 1
		.amdhsa_fp16_overflow 0
		.amdhsa_workgroup_processor_mode 1
		.amdhsa_memory_ordered 1
		.amdhsa_forward_progress 0
		.amdhsa_shared_vgpr_count 0
		.amdhsa_exception_fp_ieee_invalid_op 0
		.amdhsa_exception_fp_denorm_src 0
		.amdhsa_exception_fp_ieee_div_zero 0
		.amdhsa_exception_fp_ieee_overflow 0
		.amdhsa_exception_fp_ieee_underflow 0
		.amdhsa_exception_fp_ieee_inexact 0
		.amdhsa_exception_int_div_zero 0
	.end_amdhsa_kernel
	.section	.text._Z7dfs_gpuILi12EEvPl,"axG",@progbits,_Z7dfs_gpuILi12EEvPl,comdat
.Lfunc_end3:
	.size	_Z7dfs_gpuILi12EEvPl, .Lfunc_end3-_Z7dfs_gpuILi12EEvPl
                                        ; -- End function
	.section	.AMDGPU.csdata,"",@progbits
; Kernel info:
; codeLenInByte = 1968
; NumSgprs: 18
; NumVgprs: 30
; ScratchSize: 0
; MemoryBound: 0
; FloatMode: 240
; IeeeMode: 1
; LDSByteSize: 3216 bytes/workgroup (compile time only)
; SGPRBlocks: 2
; VGPRBlocks: 3
; NumSGPRsForWavesPerEU: 18
; NumVGPRsForWavesPerEU: 30
; Occupancy: 16
; WaveLimiterHint : 0
; COMPUTE_PGM_RSRC2:SCRATCH_EN: 0
; COMPUTE_PGM_RSRC2:USER_SGPR: 15
; COMPUTE_PGM_RSRC2:TRAP_HANDLER: 0
; COMPUTE_PGM_RSRC2:TGID_X_EN: 1
; COMPUTE_PGM_RSRC2:TGID_Y_EN: 0
; COMPUTE_PGM_RSRC2:TGID_Z_EN: 0
; COMPUTE_PGM_RSRC2:TIDIG_COMP_CNT: 0
	.section	.text._Z7dfs_gpuILi15EEvPl,"axG",@progbits,_Z7dfs_gpuILi15EEvPl,comdat
	.protected	_Z7dfs_gpuILi15EEvPl    ; -- Begin function _Z7dfs_gpuILi15EEvPl
	.globl	_Z7dfs_gpuILi15EEvPl
	.p2align	8
	.type	_Z7dfs_gpuILi15EEvPl,@function
_Z7dfs_gpuILi15EEvPl:                   ; @_Z7dfs_gpuILi15EEvPl
; %bb.0:
	s_load_b64 s[2:3], s[0:1], 0x0
	v_dual_mov_b32 v5, 0x7fff :: v_dual_mov_b32 v2, 0
	v_lshl_add_u32 v7, s15, 2, v0
	s_movk_i32 s0, 0x7c0
	v_mov_b32_e32 v6, 0xff00
	s_delay_alu instid0(VALU_DEP_3)
	v_dual_mov_b32 v18, 4 :: v_dual_mov_b32 v3, v2
	v_mov_b32_e32 v12, 1
	v_mul_u32_u24_e32 v13, 0x1f0, v0
	v_mov_b32_e32 v1, v2
	v_mov_b32_e32 v4, v2
	v_mul_u32_u24_e32 v9, 0x7c, v0
	v_lshl_add_u32 v14, v0, 4, 0xf50
	v_mad_u32_u24 v15, 0x168, v0, s0
	v_ashrrev_i32_e32 v8, 31, v7
	v_mul_u32_u24_e32 v10, 0x168, v0
	s_mov_b32 s4, 0
	s_mov_b32 s7, 0x103c3ce1
	ds_store_b128 v13, v[1:4]
	s_waitcnt lgkmcnt(0)
	s_add_u32 s5, s2, 8
	s_addc_u32 s6, s3, 0
	ds_store_b32 v9, v5 offset:3424
	ds_store_b32 v10, v6 offset:1984
	s_branch .LBB4_3
.LBB4_1:                                ;   in Loop: Header=BB4_3 Depth=1
	s_or_b32 exec_lo, exec_lo, s0
.LBB4_2:                                ;   in Loop: Header=BB4_3 Depth=1
	s_delay_alu instid0(SALU_CYCLE_1) | instskip(SKIP_3) | instid1(SALU_CYCLE_1)
	s_or_b32 exec_lo, exec_lo, s8
	v_cmp_eq_u32_e32 vcc_lo, 0, v16
	v_mov_b32_e32 v18, v16
	s_or_b32 s4, vcc_lo, s4
	s_and_not1_b32 exec_lo, exec_lo, s4
	s_cbranch_execz .LBB4_42
.LBB4_3:                                ; =>This Inner Loop Header: Depth=1
	s_delay_alu instid0(VALU_DEP_1) | instskip(SKIP_2) | instid1(VALU_DEP_2)
	v_add_nc_u32_e32 v16, -4, v18
	v_add_nc_u32_e32 v1, v18, v15
	s_mov_b32 s1, exec_lo
	v_add_nc_u32_e32 v19, v15, v16
	s_delay_alu instid0(VALU_DEP_2)
	v_add_nc_u32_e32 v20, -2, v1
	v_add_nc_u32_e32 v21, -3, v1
	;; [unrolled: 1-line block ×3, first 2 shown]
	ds_load_u8 v23, v19
	ds_load_u8 v25, v20
	ds_load_i8 v11, v21
	s_waitcnt lgkmcnt(2)
	v_bfe_i32 v24, v23, 0, 8
	s_waitcnt lgkmcnt(0)
	v_cmp_gt_i16_e32 vcc_lo, 0, v11
	s_delay_alu instid0(VALU_DEP_2) | instskip(SKIP_1) | instid1(VALU_DEP_2)
	v_lshlrev_b32_e32 v3, 4, v24
	v_lshlrev_b32_e32 v4, 2, v24
	v_add_nc_u32_e32 v10, v13, v3
	s_delay_alu instid0(VALU_DEP_2)
	v_mad_u32_u24 v1, 0x7c, v0, v4
	ds_load_u8 v17, v22
	ds_load_b128 v[3:6], v10
	ds_load_b32 v9, v1 offset:3424
	s_waitcnt lgkmcnt(1)
	ds_store_b128 v10, v[3:6] offset:16
	v_cmpx_ne_u16_e32 0, v25
	s_xor_b32 s1, exec_lo, s1
	s_cbranch_execz .LBB4_9
; %bb.4:                                ;   in Loop: Header=BB4_3 Depth=1
	s_and_saveexec_b32 s0, vcc_lo
	s_delay_alu instid0(SALU_CYCLE_1)
	s_xor_b32 s0, exec_lo, s0
	s_cbranch_execz .LBB4_6
; %bb.5:                                ;   in Loop: Header=BB4_3 Depth=1
	v_lshrrev_b64 v[24:25], v24, 0x20000000
	v_add_nc_u16 v17, v17, 1
                                        ; implicit-def: $vgpr11
	s_delay_alu instid0(VALU_DEP_2) | instskip(NEXT) | instid1(VALU_DEP_3)
	v_or_b32_e32 v6, v6, v25
	v_or_b32_e32 v5, v5, v24
	ds_store_b64 v10, v[5:6] offset:24
                                        ; implicit-def: $vgpr10
.LBB4_6:                                ;   in Loop: Header=BB4_3 Depth=1
	s_and_not1_saveexec_b32 s8, s0
	s_cbranch_execz .LBB4_8
; %bb.7:                                ;   in Loop: Header=BB4_3 Depth=1
	v_bfe_i32 v11, v11, 0, 16
	v_add_co_u32 v24, s0, v5, -1
	s_delay_alu instid0(VALU_DEP_1) | instskip(NEXT) | instid1(VALU_DEP_3)
	v_add_co_ci_u32_e64 v25, s0, -1, v6, s0
	v_lshlrev_b32_e64 v26, v11, 1
	v_add_nc_u32_e32 v11, v14, v11
	s_delay_alu instid0(VALU_DEP_4) | instskip(NEXT) | instid1(VALU_DEP_4)
	v_and_b32_e32 v5, v24, v5
	v_and_b32_e32 v6, v25, v6
	ds_store_b8 v11, v23
	ds_store_b64 v10, v[5:6] offset:24
	s_waitcnt lgkmcnt(3)
	v_xor_b32_e32 v9, v9, v26
.LBB4_8:                                ;   in Loop: Header=BB4_3 Depth=1
	s_or_b32 exec_lo, exec_lo, s8
                                        ; implicit-def: $vgpr11
                                        ; implicit-def: $vgpr10
                                        ; implicit-def: $vgpr24
.LBB4_9:                                ;   in Loop: Header=BB4_3 Depth=1
	s_and_not1_saveexec_b32 s0, s1
	s_cbranch_execz .LBB4_15
; %bb.10:                               ;   in Loop: Header=BB4_3 Depth=1
	s_and_saveexec_b32 s1, vcc_lo
	s_delay_alu instid0(SALU_CYCLE_1)
	s_xor_b32 s1, exec_lo, s1
	s_cbranch_execz .LBB4_12
; %bb.11:                               ;   in Loop: Header=BB4_3 Depth=1
	v_lshrrev_b64 v[24:25], v24, 0x20000000
	v_add_nc_u16 v17, v17, 1
                                        ; implicit-def: $vgpr11
	s_delay_alu instid0(VALU_DEP_2) | instskip(NEXT) | instid1(VALU_DEP_3)
	v_or_b32_e32 v4, v25, v4
	v_or_b32_e32 v3, v24, v3
	ds_store_b64 v10, v[3:4] offset:16
                                        ; implicit-def: $vgpr10
.LBB4_12:                               ;   in Loop: Header=BB4_3 Depth=1
	s_and_not1_saveexec_b32 s1, s1
	s_cbranch_execz .LBB4_14
; %bb.13:                               ;   in Loop: Header=BB4_3 Depth=1
	v_bfe_i32 v11, v11, 0, 16
	v_add_co_u32 v24, vcc_lo, v3, -1
	v_add_co_ci_u32_e32 v25, vcc_lo, -1, v4, vcc_lo
	s_delay_alu instid0(VALU_DEP_3) | instskip(SKIP_1) | instid1(VALU_DEP_4)
	v_lshlrev_b32_e64 v26, v11, 1
	v_add_nc_u32_e32 v11, v14, v11
	v_and_b32_e32 v3, v24, v3
	s_delay_alu instid0(VALU_DEP_4)
	v_and_b32_e32 v4, v25, v4
	ds_store_b8 v11, v23
	ds_store_b64 v10, v[3:4] offset:16
	s_waitcnt lgkmcnt(3)
	v_xor_b32_e32 v9, v9, v26
.LBB4_14:                               ;   in Loop: Header=BB4_3 Depth=1
	s_or_b32 exec_lo, exec_lo, s1
.LBB4_15:                               ;   in Loop: Header=BB4_3 Depth=1
	s_delay_alu instid0(SALU_CYCLE_1)
	s_or_b32 exec_lo, exec_lo, s0
	v_add_nc_u32_e32 v1, 0xd60, v1
	s_mov_b32 s1, 0
	s_mov_b32 s0, exec_lo
	s_waitcnt lgkmcnt(1)
	ds_store_b32 v1, v9 offset:4
	v_and_b32_e32 v1, 0xff, v23
	s_delay_alu instid0(VALU_DEP_1)
	v_cmpx_lt_i16_e32 28, v1
	s_xor_b32 s0, exec_lo, s0
	s_cbranch_execnz .LBB4_18
; %bb.16:                               ;   in Loop: Header=BB4_3 Depth=1
	s_and_not1_saveexec_b32 s8, s0
	s_cbranch_execnz .LBB4_25
.LBB4_17:                               ;   in Loop: Header=BB4_3 Depth=1
	s_or_b32 exec_lo, exec_lo, s8
	s_and_saveexec_b32 s8, s1
	s_cbranch_execz .LBB4_2
	s_branch .LBB4_28
.LBB4_18:                               ;   in Loop: Header=BB4_3 Depth=1
	s_mov_b32 s8, -1
	s_mov_b32 s1, exec_lo
	v_cmpx_eq_u16_e32 29, v1
	s_cbranch_execz .LBB4_24
; %bb.19:                               ;   in Loop: Header=BB4_3 Depth=1
	s_mov_b32 s9, exec_lo
	s_mov_b32 s8, exec_lo
	v_mbcnt_lo_u32_b32 v24, s9, 0
                                        ; implicit-def: $vgpr10_vgpr11
	s_delay_alu instid0(VALU_DEP_1)
	v_cmpx_eq_u32_e32 0, v24
	s_cbranch_execz .LBB4_21
; %bb.20:                               ;   in Loop: Header=BB4_3 Depth=1
	s_bcnt1_i32_b32 s9, s9
	s_delay_alu instid0(SALU_CYCLE_1)
	v_mov_b32_e32 v1, s9
	global_atomic_add_u64 v[10:11], v2, v[1:2], s[2:3] glc
.LBB4_21:                               ;   in Loop: Header=BB4_3 Depth=1
	s_or_b32 exec_lo, exec_lo, s8
	s_waitcnt vmcnt(0)
	v_readfirstlane_b32 s8, v10
	v_readfirstlane_b32 s9, v11
	s_delay_alu instid0(VALU_DEP_2) | instskip(NEXT) | instid1(VALU_DEP_1)
	v_add_co_u32 v10, s8, s8, v24
	v_add_co_ci_u32_e64 v11, null, s9, 0, s8
	s_mov_b32 s8, exec_lo
	s_delay_alu instid0(VALU_DEP_1)
	v_cmpx_gt_i64_e32 0x5f5e100, v[10:11]
	s_cbranch_execz .LBB4_23
; %bb.22:                               ;   in Loop: Header=BB4_3 Depth=1
	ds_load_b128 v[24:27], v14
	v_lshlrev_b64 v[10:11], 4, v[10:11]
	s_delay_alu instid0(VALU_DEP_1) | instskip(NEXT) | instid1(VALU_DEP_2)
	v_add_co_u32 v10, vcc_lo, s5, v10
	v_add_co_ci_u32_e32 v11, vcc_lo, s6, v11, vcc_lo
	s_waitcnt lgkmcnt(0)
	global_store_b128 v[10:11], v[24:27], off
.LBB4_23:                               ;   in Loop: Header=BB4_3 Depth=1
	s_or_b32 exec_lo, exec_lo, s8
	s_delay_alu instid0(SALU_CYCLE_1)
	s_xor_b32 s8, exec_lo, -1
.LBB4_24:                               ;   in Loop: Header=BB4_3 Depth=1
	s_or_b32 exec_lo, exec_lo, s1
	s_delay_alu instid0(SALU_CYCLE_1)
	s_and_b32 s1, s8, exec_lo
                                        ; implicit-def: $vgpr1
	s_and_not1_saveexec_b32 s8, s0
	s_cbranch_execz .LBB4_17
.LBB4_25:                               ;   in Loop: Header=BB4_3 Depth=1
	s_mov_b32 s0, -1
	s_mov_b32 s9, exec_lo
	v_cmpx_eq_u16_e32 9, v1
	s_cbranch_execz .LBB4_27
; %bb.26:                               ;   in Loop: Header=BB4_3 Depth=1
	s_add_u32 s0, 0x3c3dd, s7
	s_addc_u32 s11, 0, 0
	v_add_co_u32 v11, s0, 0xf0000000, s0
	s_delay_alu instid0(VALU_DEP_1) | instskip(SKIP_2) | instid1(VALU_DEP_3)
	s_cmp_lg_u32 s0, 0
	v_ashrrev_i32_e32 v10, 31, v9
	v_sub_co_u32 v1, vcc_lo, v5, v3
	v_readfirstlane_b32 s10, v11
	s_addc_u32 s0, s11, 0x4000f
	v_sub_co_ci_u32_e32 v26, vcc_lo, v6, v4, vcc_lo
	s_mul_i32 s12, s0, 0xffffc001
	s_delay_alu instid0(VALU_DEP_2) | instskip(SKIP_2) | instid1(SALU_CYCLE_1)
	s_mul_hi_u32 s11, s10, 0xffffc001
	v_mad_u64_u32 v[24:25], null, 0x1ffff, v1, v[9:10]
	s_sub_i32 s11, s11, s10
	s_add_i32 s11, s11, s12
	s_mul_i32 s12, s10, 0xffffc001
	s_mul_i32 s13, s10, s11
	s_mul_hi_u32 s14, s10, s12
	s_mul_hi_u32 s10, s10, s11
	s_add_u32 s13, s14, s13
	s_mul_i32 s15, s0, s12
	s_addc_u32 s10, 0, s10
	s_mul_hi_u32 s12, s0, s12
	s_mul_hi_u32 s14, s0, s11
	s_add_u32 s13, s13, s15
	s_addc_u32 s10, s10, s12
	s_mul_i32 s11, s0, s11
	s_addc_u32 s12, s14, 0
	v_mov_b32_e32 v1, v25
	s_add_u32 s10, s10, s11
	s_addc_u32 s11, 0, s12
	v_add_co_u32 v29, s10, v11, s10
	s_delay_alu instid0(VALU_DEP_1) | instskip(SKIP_2) | instid1(VALU_DEP_2)
	s_cmp_lg_u32 s10, 0
	v_mad_u64_u32 v[10:11], null, 0x1ffff, v26, v[1:2]
	s_addc_u32 s0, s0, s11
	v_mul_hi_u32 v1, v24, v29
	v_mad_u64_u32 v[25:26], null, v24, s0, 0
	s_delay_alu instid0(VALU_DEP_3) | instskip(NEXT) | instid1(VALU_DEP_2)
	v_mad_u64_u32 v[27:28], null, v10, v29, 0
	v_add_co_u32 v1, vcc_lo, v1, v25
	s_delay_alu instid0(VALU_DEP_3) | instskip(SKIP_1) | instid1(VALU_DEP_3)
	v_add_co_ci_u32_e32 v11, vcc_lo, 0, v26, vcc_lo
	v_mad_u64_u32 v[25:26], null, v10, s0, 0
	v_add_co_u32 v1, vcc_lo, v1, v27
	s_delay_alu instid0(VALU_DEP_3) | instskip(NEXT) | instid1(VALU_DEP_3)
	v_add_co_ci_u32_e32 v1, vcc_lo, v11, v28, vcc_lo
	v_add_co_ci_u32_e32 v11, vcc_lo, 0, v26, vcc_lo
	s_delay_alu instid0(VALU_DEP_2) | instskip(NEXT) | instid1(VALU_DEP_2)
	v_add_co_u32 v1, vcc_lo, v1, v25
	v_add_co_ci_u32_e32 v11, vcc_lo, 0, v11, vcc_lo
	s_delay_alu instid0(VALU_DEP_2) | instskip(NEXT) | instid1(VALU_DEP_1)
	v_mad_u64_u32 v[25:26], null, 0x3fff, v1, 0
	v_mov_b32_e32 v1, v26
	s_delay_alu instid0(VALU_DEP_1) | instskip(NEXT) | instid1(VALU_DEP_3)
	v_mad_u64_u32 v[26:27], null, 0x3fff, v11, v[1:2]
	v_sub_co_u32 v1, vcc_lo, v24, v25
	s_delay_alu instid0(VALU_DEP_2) | instskip(NEXT) | instid1(VALU_DEP_2)
	v_sub_co_ci_u32_e32 v10, vcc_lo, v10, v26, vcc_lo
	v_subrev_co_u32 v11, vcc_lo, 0x3fff, v1
	s_delay_alu instid0(VALU_DEP_2) | instskip(NEXT) | instid1(VALU_DEP_2)
	v_subrev_co_ci_u32_e32 v24, vcc_lo, 0, v10, vcc_lo
	v_cmp_lt_u32_e32 vcc_lo, 0x3ffe, v11
	v_cmp_eq_u32_e64 s0, 0, v10
	v_cndmask_b32_e64 v25, 0, -1, vcc_lo
	v_cmp_lt_u32_e32 vcc_lo, 0x3ffe, v1
	v_cndmask_b32_e64 v26, 0, -1, vcc_lo
	v_cmp_eq_u32_e32 vcc_lo, 0, v24
	s_delay_alu instid0(VALU_DEP_4) | instskip(SKIP_2) | instid1(VALU_DEP_3)
	v_cndmask_b32_e32 v25, -1, v25, vcc_lo
	v_subrev_co_u32 v27, vcc_lo, 0x3fff, v11
	v_subrev_co_ci_u32_e32 v28, vcc_lo, 0, v24, vcc_lo
	v_cmp_ne_u32_e32 vcc_lo, 0, v25
	v_cndmask_b32_e64 v25, -1, v26, s0
	s_delay_alu instid0(VALU_DEP_3) | instskip(SKIP_1) | instid1(VALU_DEP_3)
	v_cndmask_b32_e32 v24, v24, v28, vcc_lo
	v_cndmask_b32_e32 v26, v11, v27, vcc_lo
	v_cmp_ne_u32_e32 vcc_lo, 0, v25
	s_delay_alu instid0(VALU_DEP_2) | instskip(NEXT) | instid1(VALU_DEP_1)
	v_dual_cndmask_b32 v11, v10, v24 :: v_dual_cndmask_b32 v10, v1, v26
	v_cmp_eq_u64_e32 vcc_lo, v[10:11], v[7:8]
	s_or_not1_b32 s0, vcc_lo, exec_lo
.LBB4_27:                               ;   in Loop: Header=BB4_3 Depth=1
	s_or_b32 exec_lo, exec_lo, s9
	s_delay_alu instid0(SALU_CYCLE_1) | instskip(SKIP_1) | instid1(SALU_CYCLE_1)
	s_and_not1_b32 s1, s1, exec_lo
	s_and_b32 s0, s0, exec_lo
	s_or_b32 s1, s1, s0
	s_or_b32 exec_lo, exec_lo, s8
	s_and_saveexec_b32 s8, s1
	s_cbranch_execz .LBB4_2
.LBB4_28:                               ;   in Loop: Header=BB4_3 Depth=1
	v_add_nc_u16 v1, v23, 1
	v_sub_nc_u16 v10, v23, 30
	s_mov_b32 s9, exec_lo
	s_delay_alu instid0(VALU_DEP_2) | instskip(NEXT) | instid1(VALU_DEP_1)
	v_bfe_i32 v1, v1, 0, 8
	v_cmp_gt_i16_e32 vcc_lo, 16, v1
	v_cmpx_ne_u64_e32 0, v[3:4]
	s_cbranch_execz .LBB4_34
; %bb.29:                               ;   in Loop: Header=BB4_3 Depth=1
	v_ctz_i32_b32_e32 v4, v4
	v_ctz_i32_b32_e32 v3, v3
	s_mov_b32 s10, exec_lo
	s_delay_alu instid0(VALU_DEP_2) | instskip(NEXT) | instid1(VALU_DEP_1)
	v_add_nc_u32_e32 v4, 32, v4
	v_min_u32_e32 v3, v3, v4
	s_delay_alu instid0(VALU_DEP_1) | instskip(NEXT) | instid1(VALU_DEP_1)
	v_add_nc_u16 v3, v10, v3
	v_and_b32_e32 v4, 0xff, v3
	s_delay_alu instid0(VALU_DEP_1)
	v_cmpx_gt_u16_e32 15, v4
	s_cbranch_execz .LBB4_33
; %bb.30:                               ;   in Loop: Header=BB4_3 Depth=1
	v_lshrrev_b32_e32 v11, v3, v9
	v_cmp_ne_u16_e64 s0, 0, v4
	s_delay_alu instid0(VALU_DEP_2) | instskip(NEXT) | instid1(VALU_DEP_2)
	v_and_b32_e32 v11, 1, v11
	s_or_b32 s0, vcc_lo, s0
	s_delay_alu instid0(VALU_DEP_1) | instskip(NEXT) | instid1(VALU_DEP_1)
	v_cmp_eq_u32_e64 s1, 1, v11
	s_and_b32 s1, s0, s1
	s_delay_alu instid0(SALU_CYCLE_1)
	s_and_saveexec_b32 s0, s1
	s_cbranch_execz .LBB4_32
; %bb.31:                               ;   in Loop: Header=BB4_3 Depth=1
	v_mov_b32_e32 v16, v18
	ds_store_b8 v19, v1
	ds_store_b8 v21, v3
	;; [unrolled: 1-line block ×4, first 2 shown]
.LBB4_32:                               ;   in Loop: Header=BB4_3 Depth=1
	s_or_b32 exec_lo, exec_lo, s0
.LBB4_33:                               ;   in Loop: Header=BB4_3 Depth=1
	s_delay_alu instid0(SALU_CYCLE_1)
	s_or_b32 exec_lo, exec_lo, s10
.LBB4_34:                               ;   in Loop: Header=BB4_3 Depth=1
	s_delay_alu instid0(SALU_CYCLE_1) | instskip(NEXT) | instid1(SALU_CYCLE_1)
	s_or_b32 exec_lo, exec_lo, s9
	s_mov_b32 s9, exec_lo
	v_cmpx_ne_u64_e32 0, v[5:6]
	s_cbranch_execz .LBB4_40
; %bb.35:                               ;   in Loop: Header=BB4_3 Depth=1
	v_ctz_i32_b32_e32 v3, v6
	v_ctz_i32_b32_e32 v4, v5
	s_mov_b32 s10, exec_lo
	s_delay_alu instid0(VALU_DEP_2) | instskip(NEXT) | instid1(VALU_DEP_1)
	v_add_nc_u32_e32 v3, 32, v3
	v_min_u32_e32 v3, v4, v3
	s_delay_alu instid0(VALU_DEP_1) | instskip(NEXT) | instid1(VALU_DEP_1)
	v_add_nc_u16 v3, v10, v3
	v_and_b32_e32 v4, 0xff, v3
	s_delay_alu instid0(VALU_DEP_1)
	v_cmpx_gt_u16_e32 15, v4
	s_cbranch_execz .LBB4_39
; %bb.36:                               ;   in Loop: Header=BB4_3 Depth=1
	v_lshrrev_b32_e32 v5, v3, v9
	v_cmp_ne_u16_e64 s0, 0, v4
	s_delay_alu instid0(VALU_DEP_2) | instskip(NEXT) | instid1(VALU_DEP_2)
	v_and_b32_e32 v5, 1, v5
	s_or_b32 s0, vcc_lo, s0
	s_delay_alu instid0(VALU_DEP_1) | instskip(NEXT) | instid1(VALU_DEP_1)
	v_cmp_eq_u32_e64 s1, 1, v5
	s_and_b32 s1, s0, s1
	s_delay_alu instid0(SALU_CYCLE_1)
	s_and_saveexec_b32 s0, s1
	s_cbranch_execz .LBB4_38
; %bb.37:                               ;   in Loop: Header=BB4_3 Depth=1
	v_mad_u32_u24 v4, 0x168, v0, v16
	v_add_nc_u32_e32 v16, 4, v16
	ds_store_b8 v4, v1 offset:1984
	ds_store_b8 v4, v3 offset:1985
	;; [unrolled: 1-line block ×4, first 2 shown]
.LBB4_38:                               ;   in Loop: Header=BB4_3 Depth=1
	s_or_b32 exec_lo, exec_lo, s0
.LBB4_39:                               ;   in Loop: Header=BB4_3 Depth=1
	s_delay_alu instid0(SALU_CYCLE_1)
	s_or_b32 exec_lo, exec_lo, s10
.LBB4_40:                               ;   in Loop: Header=BB4_3 Depth=1
	s_delay_alu instid0(SALU_CYCLE_1) | instskip(SKIP_2) | instid1(VALU_DEP_1)
	s_or_b32 exec_lo, exec_lo, s9
	v_bfe_i32 v3, v17, 0, 8
	s_mov_b32 s0, exec_lo
	v_cmpx_gt_i16_e32 15, v3
	s_cbranch_execz .LBB4_1
; %bb.41:                               ;   in Loop: Header=BB4_3 Depth=1
	v_lshlrev_b16 v3, 8, v17
	v_or_b32_e32 v1, 0xffffff00, v1
	v_mad_u32_u24 v5, 0x168, v0, v16
	v_add_nc_u32_e32 v16, 8, v16
	s_delay_alu instid0(VALU_DEP_4) | instskip(NEXT) | instid1(VALU_DEP_4)
	v_or_b32_e32 v3, 1, v3
	v_and_b32_e32 v1, 0xffff, v1
	s_delay_alu instid0(VALU_DEP_2) | instskip(NEXT) | instid1(VALU_DEP_2)
	v_lshlrev_b32_e32 v3, 16, v3
	v_lshl_or_b32 v4, v17, 24, v1
	s_delay_alu instid0(VALU_DEP_2)
	v_or_b32_e32 v3, v1, v3
	ds_store_b64 v5, v[3:4] offset:1984
	s_branch .LBB4_1
.LBB4_42:
	s_nop 0
	s_sendmsg sendmsg(MSG_DEALLOC_VGPRS)
	s_endpgm
	.section	.rodata,"a",@progbits
	.p2align	6, 0x0
	.amdhsa_kernel _Z7dfs_gpuILi15EEvPl
		.amdhsa_group_segment_fixed_size 3984
		.amdhsa_private_segment_fixed_size 0
		.amdhsa_kernarg_size 8
		.amdhsa_user_sgpr_count 15
		.amdhsa_user_sgpr_dispatch_ptr 0
		.amdhsa_user_sgpr_queue_ptr 0
		.amdhsa_user_sgpr_kernarg_segment_ptr 1
		.amdhsa_user_sgpr_dispatch_id 0
		.amdhsa_user_sgpr_private_segment_size 0
		.amdhsa_wavefront_size32 1
		.amdhsa_uses_dynamic_stack 0
		.amdhsa_enable_private_segment 0
		.amdhsa_system_sgpr_workgroup_id_x 1
		.amdhsa_system_sgpr_workgroup_id_y 0
		.amdhsa_system_sgpr_workgroup_id_z 0
		.amdhsa_system_sgpr_workgroup_info 0
		.amdhsa_system_vgpr_workitem_id 0
		.amdhsa_next_free_vgpr 30
		.amdhsa_next_free_sgpr 16
		.amdhsa_reserve_vcc 1
		.amdhsa_float_round_mode_32 0
		.amdhsa_float_round_mode_16_64 0
		.amdhsa_float_denorm_mode_32 3
		.amdhsa_float_denorm_mode_16_64 3
		.amdhsa_dx10_clamp 1
		.amdhsa_ieee_mode 1
		.amdhsa_fp16_overflow 0
		.amdhsa_workgroup_processor_mode 1
		.amdhsa_memory_ordered 1
		.amdhsa_forward_progress 0
		.amdhsa_shared_vgpr_count 0
		.amdhsa_exception_fp_ieee_invalid_op 0
		.amdhsa_exception_fp_denorm_src 0
		.amdhsa_exception_fp_ieee_div_zero 0
		.amdhsa_exception_fp_ieee_overflow 0
		.amdhsa_exception_fp_ieee_underflow 0
		.amdhsa_exception_fp_ieee_inexact 0
		.amdhsa_exception_int_div_zero 0
	.end_amdhsa_kernel
	.section	.text._Z7dfs_gpuILi15EEvPl,"axG",@progbits,_Z7dfs_gpuILi15EEvPl,comdat
.Lfunc_end4:
	.size	_Z7dfs_gpuILi15EEvPl, .Lfunc_end4-_Z7dfs_gpuILi15EEvPl
                                        ; -- End function
	.section	.AMDGPU.csdata,"",@progbits
; Kernel info:
; codeLenInByte = 1968
; NumSgprs: 18
; NumVgprs: 30
; ScratchSize: 0
; MemoryBound: 0
; FloatMode: 240
; IeeeMode: 1
; LDSByteSize: 3984 bytes/workgroup (compile time only)
; SGPRBlocks: 2
; VGPRBlocks: 3
; NumSGPRsForWavesPerEU: 18
; NumVGPRsForWavesPerEU: 30
; Occupancy: 16
; WaveLimiterHint : 0
; COMPUTE_PGM_RSRC2:SCRATCH_EN: 0
; COMPUTE_PGM_RSRC2:USER_SGPR: 15
; COMPUTE_PGM_RSRC2:TRAP_HANDLER: 0
; COMPUTE_PGM_RSRC2:TGID_X_EN: 1
; COMPUTE_PGM_RSRC2:TGID_Y_EN: 0
; COMPUTE_PGM_RSRC2:TGID_Z_EN: 0
; COMPUTE_PGM_RSRC2:TIDIG_COMP_CNT: 0
	.text
	.p2alignl 7, 3214868480
	.fill 96, 4, 3214868480
	.type	__hip_cuid_6da8d971f2972681,@object ; @__hip_cuid_6da8d971f2972681
	.section	.bss,"aw",@nobits
	.globl	__hip_cuid_6da8d971f2972681
__hip_cuid_6da8d971f2972681:
	.byte	0                               ; 0x0
	.size	__hip_cuid_6da8d971f2972681, 1

	.ident	"AMD clang version 19.0.0git (https://github.com/RadeonOpenCompute/llvm-project roc-6.4.0 25133 c7fe45cf4b819c5991fe208aaa96edf142730f1d)"
	.section	".note.GNU-stack","",@progbits
	.addrsig
	.addrsig_sym __hip_cuid_6da8d971f2972681
	.amdgpu_metadata
---
amdhsa.kernels:
  - .args:
      - .address_space:  global
        .offset:         0
        .size:           8
        .value_kind:     global_buffer
    .group_segment_fixed_size: 1904
    .kernarg_segment_align: 8
    .kernarg_segment_size: 8
    .language:       OpenCL C
    .language_version:
      - 2
      - 0
    .max_flat_workgroup_size: 1024
    .name:           _Z7dfs_gpuILi7EEvPl
    .private_segment_fixed_size: 0
    .sgpr_count:     18
    .sgpr_spill_count: 0
    .symbol:         _Z7dfs_gpuILi7EEvPl.kd
    .uniform_work_group_size: 1
    .uses_dynamic_stack: false
    .vgpr_count:     30
    .vgpr_spill_count: 0
    .wavefront_size: 32
    .workgroup_processor_mode: 1
  - .args:
      - .address_space:  global
        .offset:         0
        .size:           8
        .value_kind:     global_buffer
    .group_segment_fixed_size: 2160
    .kernarg_segment_align: 8
    .kernarg_segment_size: 8
    .language:       OpenCL C
    .language_version:
      - 2
      - 0
    .max_flat_workgroup_size: 1024
    .name:           _Z7dfs_gpuILi8EEvPl
    .private_segment_fixed_size: 0
    .sgpr_count:     18
    .sgpr_spill_count: 0
    .symbol:         _Z7dfs_gpuILi8EEvPl.kd
    .uniform_work_group_size: 1
    .uses_dynamic_stack: false
    .vgpr_count:     30
    .vgpr_spill_count: 0
    .wavefront_size: 32
    .workgroup_processor_mode: 1
  - .args:
      - .address_space:  global
        .offset:         0
        .size:           8
        .value_kind:     global_buffer
    .group_segment_fixed_size: 2960
    .kernarg_segment_align: 8
    .kernarg_segment_size: 8
    .language:       OpenCL C
    .language_version:
      - 2
      - 0
    .max_flat_workgroup_size: 1024
    .name:           _Z7dfs_gpuILi11EEvPl
    .private_segment_fixed_size: 0
    .sgpr_count:     18
    .sgpr_spill_count: 0
    .symbol:         _Z7dfs_gpuILi11EEvPl.kd
    .uniform_work_group_size: 1
    .uses_dynamic_stack: false
    .vgpr_count:     30
    .vgpr_spill_count: 0
    .wavefront_size: 32
    .workgroup_processor_mode: 1
  - .args:
      - .address_space:  global
        .offset:         0
        .size:           8
        .value_kind:     global_buffer
    .group_segment_fixed_size: 3216
    .kernarg_segment_align: 8
    .kernarg_segment_size: 8
    .language:       OpenCL C
    .language_version:
      - 2
      - 0
    .max_flat_workgroup_size: 1024
    .name:           _Z7dfs_gpuILi12EEvPl
    .private_segment_fixed_size: 0
    .sgpr_count:     18
    .sgpr_spill_count: 0
    .symbol:         _Z7dfs_gpuILi12EEvPl.kd
    .uniform_work_group_size: 1
    .uses_dynamic_stack: false
    .vgpr_count:     30
    .vgpr_spill_count: 0
    .wavefront_size: 32
    .workgroup_processor_mode: 1
  - .args:
      - .address_space:  global
        .offset:         0
        .size:           8
        .value_kind:     global_buffer
    .group_segment_fixed_size: 3984
    .kernarg_segment_align: 8
    .kernarg_segment_size: 8
    .language:       OpenCL C
    .language_version:
      - 2
      - 0
    .max_flat_workgroup_size: 1024
    .name:           _Z7dfs_gpuILi15EEvPl
    .private_segment_fixed_size: 0
    .sgpr_count:     18
    .sgpr_spill_count: 0
    .symbol:         _Z7dfs_gpuILi15EEvPl.kd
    .uniform_work_group_size: 1
    .uses_dynamic_stack: false
    .vgpr_count:     30
    .vgpr_spill_count: 0
    .wavefront_size: 32
    .workgroup_processor_mode: 1
amdhsa.target:   amdgcn-amd-amdhsa--gfx1100
amdhsa.version:
  - 1
  - 2
...

	.end_amdgpu_metadata
